;; amdgpu-corpus repo=ROCm/rocFFT kind=compiled arch=gfx906 opt=O3
	.text
	.amdgcn_target "amdgcn-amd-amdhsa--gfx906"
	.amdhsa_code_object_version 6
	.protected	bluestein_single_fwd_len968_dim1_dp_op_CI_CI ; -- Begin function bluestein_single_fwd_len968_dim1_dp_op_CI_CI
	.globl	bluestein_single_fwd_len968_dim1_dp_op_CI_CI
	.p2align	8
	.type	bluestein_single_fwd_len968_dim1_dp_op_CI_CI,@function
bluestein_single_fwd_len968_dim1_dp_op_CI_CI: ; @bluestein_single_fwd_len968_dim1_dp_op_CI_CI
; %bb.0:
	s_load_dwordx4 s[12:15], s[4:5], 0x28
	v_mul_u32_u24_e32 v1, 0x2e9, v0
	v_lshrrev_b32_e32 v44, 16, v1
	v_lshl_add_u32 v176, s6, 1, v44
	v_mov_b32_e32 v177, 0
	s_waitcnt lgkmcnt(0)
	v_cmp_gt_u64_e32 vcc, s[12:13], v[176:177]
	s_and_saveexec_b64 s[0:1], vcc
	s_cbranch_execz .LBB0_31
; %bb.1:
	s_load_dwordx4 s[8:11], s[4:5], 0x18
	s_load_dwordx2 s[12:13], s[4:5], 0x0
	v_mul_lo_u16_e32 v1, 0x58, v44
	v_sub_u16_e32 v181, v0, v1
	v_lshlrev_b32_e32 v93, 4, v181
	s_waitcnt lgkmcnt(0)
	s_load_dwordx4 s[0:3], s[8:9], 0x0
	v_and_b32_e32 v44, 1, v44
	s_waitcnt lgkmcnt(0)
	v_mad_u64_u32 v[0:1], s[6:7], s2, v176, 0
	v_mad_u64_u32 v[2:3], s[6:7], s0, v181, 0
	s_mul_i32 s6, s1, 0x1e4
	s_mul_hi_u32 s7, s0, 0x1e4
	v_mad_u64_u32 v[4:5], s[2:3], s3, v176, v[1:2]
	s_add_i32 s7, s7, s6
	s_mul_i32 s6, s0, 0x1e4
	v_mad_u64_u32 v[5:6], s[2:3], s1, v181, v[3:4]
	v_mov_b32_e32 v1, v4
	v_lshlrev_b64 v[0:1], 4, v[0:1]
	v_mov_b32_e32 v6, s15
	v_mov_b32_e32 v3, v5
	v_add_co_u32_e32 v4, vcc, s14, v0
	v_addc_co_u32_e32 v5, vcc, v6, v1, vcc
	v_lshlrev_b64 v[0:1], 4, v[2:3]
	v_mov_b32_e32 v2, s13
	v_add_co_u32_e32 v0, vcc, v4, v0
	v_add_co_u32_e64 v179, s[2:3], s12, v93
	v_addc_co_u32_e32 v1, vcc, v5, v1, vcc
	v_addc_co_u32_e64 v180, vcc, 0, v2, s[2:3]
	s_lshl_b64 s[14:15], s[6:7], 4
	v_mov_b32_e32 v40, s15
	v_add_co_u32_e32 v4, vcc, s14, v0
	v_addc_co_u32_e32 v5, vcc, v1, v40, vcc
	s_movk_i32 s6, 0x1000
	v_add_co_u32_e32 v28, vcc, s6, v179
	s_mul_hi_u32 s6, s0, 0xfffffe74
	s_mulk_i32 s1, 0xfe74
	s_sub_i32 s6, s6, s0
	s_add_i32 s1, s6, s1
	s_mulk_i32 s0, 0xfe74
	v_addc_co_u32_e32 v29, vcc, 0, v180, vcc
	s_lshl_b64 s[16:17], s[0:1], 4
	global_load_dwordx4 v[45:48], v[0:1], off
	global_load_dwordx4 v[49:52], v[4:5], off
	v_mov_b32_e32 v31, s17
	v_add_co_u32_e32 v8, vcc, s16, v4
	global_load_dwordx4 v[0:3], v[28:29], off offset:3648
	v_addc_co_u32_e32 v9, vcc, v5, v31, vcc
	global_load_dwordx4 v[36:39], v93, s[12:13]
	global_load_dwordx4 v[4:7], v93, s[12:13] offset:1408
	v_add_co_u32_e32 v10, vcc, s14, v8
	v_addc_co_u32_e32 v11, vcc, v9, v40, vcc
	s_movk_i32 s0, 0x2000
	v_add_co_u32_e32 v24, vcc, s0, v179
	v_addc_co_u32_e32 v25, vcc, 0, v180, vcc
	v_add_co_u32_e32 v12, vcc, s16, v10
	v_addc_co_u32_e32 v13, vcc, v11, v31, vcc
	v_add_co_u32_e32 v16, vcc, s14, v12
	global_load_dwordx4 v[53:56], v[8:9], off
	global_load_dwordx4 v[57:60], v[10:11], off
	;; [unrolled: 1-line block ×3, first 2 shown]
	s_nop 0
	global_load_dwordx4 v[8:11], v93, s[12:13] offset:2816
	v_addc_co_u32_e32 v17, vcc, v13, v40, vcc
	global_load_dwordx4 v[65:68], v[16:17], off
	global_load_dwordx4 v[20:23], v[24:25], off offset:960
	global_load_dwordx4 v[12:15], v[24:25], off offset:2368
	v_add_co_u32_e32 v16, vcc, s16, v16
	v_addc_co_u32_e32 v17, vcc, v17, v31, vcc
	v_add_co_u32_e32 v26, vcc, s14, v16
	v_addc_co_u32_e32 v27, vcc, v17, v40, vcc
	v_add_co_u32_e32 v30, vcc, s16, v26
	v_addc_co_u32_e32 v31, vcc, v27, v31, vcc
	v_add_co_u32_e32 v42, vcc, s14, v30
	global_load_dwordx4 v[69:72], v[16:17], off
	v_addc_co_u32_e32 v43, vcc, v31, v40, vcc
	s_movk_i32 s0, 0x3000
	global_load_dwordx4 v[73:76], v[26:27], off
	global_load_dwordx4 v[16:19], v[24:25], off offset:3776
	global_load_dwordx4 v[77:80], v[30:31], off
	global_load_dwordx4 v[32:35], v[28:29], off offset:128
	s_nop 0
	global_load_dwordx4 v[24:27], v[28:29], off offset:1536
	v_add_co_u32_e32 v40, vcc, s0, v179
	v_addc_co_u32_e32 v41, vcc, 0, v180, vcc
	global_load_dwordx4 v[81:84], v[42:43], off
	global_load_dwordx4 v[28:31], v[40:41], off offset:1088
	v_cmp_eq_u32_e32 vcc, 1, v44
	s_load_dwordx4 s[8:11], s[10:11], 0x0
	v_cmp_gt_u16_e64 s[0:1], 44, v181
	s_load_dwordx2 s[6:7], s[4:5], 0x38
	s_waitcnt vmcnt(17)
	v_mul_f64 v[89:90], v[51:52], v[2:3]
	v_mul_f64 v[91:92], v[49:50], v[2:3]
	s_waitcnt vmcnt(16)
	v_mul_f64 v[85:86], v[47:48], v[38:39]
	v_mul_f64 v[87:88], v[45:46], v[38:39]
	v_fma_f64 v[49:50], v[49:50], v[0:1], v[89:90]
	v_fma_f64 v[51:52], v[51:52], v[0:1], -v[91:92]
	v_fma_f64 v[45:46], v[45:46], v[36:37], v[85:86]
	v_fma_f64 v[47:48], v[47:48], v[36:37], -v[87:88]
	v_mov_b32_e32 v85, 0x3c80
	v_cndmask_b32_e32 v183, 0, v85, vcc
	v_add_u32_e32 v182, v183, v93
	ds_write_b128 v182, v[45:48]
	ds_write_b128 v182, v[49:52] offset:7744
	s_waitcnt vmcnt(14)
	v_mul_f64 v[44:45], v[55:56], v[6:7]
	v_mul_f64 v[46:47], v[53:54], v[6:7]
	s_waitcnt vmcnt(9)
	v_mul_f64 v[50:51], v[57:58], v[22:23]
	v_mul_f64 v[85:86], v[63:64], v[10:11]
	;; [unrolled: 1-line block ×4, first 2 shown]
	s_waitcnt vmcnt(8)
	v_mul_f64 v[89:90], v[67:68], v[14:15]
	v_mul_f64 v[91:92], v[65:66], v[14:15]
	v_fma_f64 v[44:45], v[53:54], v[4:5], v[44:45]
	v_fma_f64 v[46:47], v[55:56], v[4:5], -v[46:47]
	v_fma_f64 v[50:51], v[59:60], v[20:21], -v[50:51]
	v_fma_f64 v[52:53], v[61:62], v[8:9], v[85:86]
	v_fma_f64 v[54:55], v[63:64], v[8:9], -v[87:88]
	v_fma_f64 v[48:49], v[57:58], v[20:21], v[48:49]
	v_fma_f64 v[56:57], v[65:66], v[12:13], v[89:90]
	v_fma_f64 v[58:59], v[67:68], v[12:13], -v[91:92]
	s_waitcnt vmcnt(3)
	v_mul_f64 v[60:61], v[71:72], v[34:35]
	v_mul_f64 v[62:63], v[69:70], v[34:35]
	;; [unrolled: 1-line block ×4, first 2 shown]
	s_waitcnt vmcnt(2)
	v_mul_f64 v[85:86], v[79:80], v[26:27]
	v_mul_f64 v[87:88], v[77:78], v[26:27]
	s_waitcnt vmcnt(0)
	v_mul_f64 v[89:90], v[83:84], v[30:31]
	v_mul_f64 v[91:92], v[81:82], v[30:31]
	v_fma_f64 v[60:61], v[69:70], v[32:33], v[60:61]
	v_fma_f64 v[62:63], v[71:72], v[32:33], -v[62:63]
	v_fma_f64 v[64:65], v[73:74], v[16:17], v[64:65]
	v_fma_f64 v[66:67], v[75:76], v[16:17], -v[66:67]
	;; [unrolled: 2-line block ×4, first 2 shown]
	ds_write_b128 v182, v[44:47] offset:1408
	ds_write_b128 v182, v[48:51] offset:9152
	;; [unrolled: 1-line block ×8, first 2 shown]
	s_and_saveexec_b64 s[18:19], s[0:1]
	s_cbranch_execz .LBB0_3
; %bb.2:
	v_mov_b32_e32 v44, s17
	v_add_co_u32_e32 v50, vcc, s16, v42
	v_addc_co_u32_e32 v51, vcc, v43, v44, vcc
	v_add_co_u32_e32 v46, vcc, 0x1000, v179
	v_addc_co_u32_e32 v47, vcc, 0, v180, vcc
	global_load_dwordx4 v[42:45], v[50:51], off
	v_mov_b32_e32 v52, s15
	global_load_dwordx4 v[46:49], v[46:47], off offset:2944
	v_add_co_u32_e32 v58, vcc, s14, v50
	v_addc_co_u32_e32 v59, vcc, v51, v52, vcc
	global_load_dwordx4 v[50:53], v[40:41], off offset:2496
	global_load_dwordx4 v[54:57], v[58:59], off
	s_waitcnt vmcnt(2)
	v_mul_f64 v[40:41], v[44:45], v[48:49]
	v_mul_f64 v[48:49], v[42:43], v[48:49]
	s_waitcnt vmcnt(0)
	v_mul_f64 v[58:59], v[56:57], v[52:53]
	v_mul_f64 v[52:53], v[54:55], v[52:53]
	v_fma_f64 v[40:41], v[42:43], v[46:47], v[40:41]
	v_fma_f64 v[42:43], v[44:45], v[46:47], -v[48:49]
	v_fma_f64 v[44:45], v[54:55], v[50:51], v[58:59]
	v_fma_f64 v[46:47], v[56:57], v[50:51], -v[52:53]
	ds_write_b128 v182, v[40:43] offset:7040
	ds_write_b128 v182, v[44:47] offset:14784
.LBB0_3:
	s_or_b64 exec, exec, s[18:19]
	s_waitcnt lgkmcnt(0)
	s_barrier
	ds_read_b128 v[76:79], v182
	ds_read_b128 v[72:75], v182 offset:1408
	ds_read_b128 v[80:83], v182 offset:9152
	;; [unrolled: 1-line block ×9, first 2 shown]
                                        ; implicit-def: $vgpr56_vgpr57
                                        ; implicit-def: $vgpr60_vgpr61
	s_and_saveexec_b64 s[14:15], s[0:1]
	s_cbranch_execz .LBB0_5
; %bb.4:
	ds_read_b128 v[56:59], v182 offset:7040
	ds_read_b128 v[60:63], v182 offset:14784
.LBB0_5:
	s_or_b64 exec, exec, s[14:15]
	s_waitcnt lgkmcnt(3)
	v_add_f64 v[84:85], v[76:77], -v[84:85]
	v_add_f64 v[86:87], v[78:79], -v[86:87]
	;; [unrolled: 1-line block ×6, first 2 shown]
	s_waitcnt lgkmcnt(1)
	v_add_f64 v[64:65], v[40:41], -v[64:65]
	v_add_f64 v[66:67], v[42:43], -v[66:67]
	s_waitcnt lgkmcnt(0)
	v_add_f64 v[88:89], v[52:53], -v[48:49]
	v_add_f64 v[90:91], v[54:55], -v[50:51]
	;; [unrolled: 1-line block ×4, first 2 shown]
	v_fma_f64 v[76:77], v[76:77], 2.0, -v[84:85]
	v_fma_f64 v[78:79], v[78:79], 2.0, -v[86:87]
	;; [unrolled: 1-line block ×12, first 2 shown]
	s_load_dwordx2 s[4:5], s[4:5], 0x8
	v_lshlrev_b32_e32 v96, 1, v181
	s_movk_i32 s12, 0x1b8
	v_add_co_u32_e32 v92, vcc, s12, v181
	v_add_u32_e32 v100, 0xb0, v96
	v_add_u32_e32 v99, 0x160, v96
	;; [unrolled: 1-line block ×4, first 2 shown]
	v_lshl_add_u32 v188, v181, 5, v183
	v_lshl_add_u32 v189, v100, 4, v183
	;; [unrolled: 1-line block ×6, first 2 shown]
	s_waitcnt lgkmcnt(0)
	s_barrier
	ds_write_b128 v188, v[76:79]
	ds_write_b128 v188, v[84:87] offset:16
	ds_write_b128 v189, v[72:75]
	ds_write_b128 v189, v[80:83] offset:16
	;; [unrolled: 2-line block ×5, first 2 shown]
	s_and_saveexec_b64 s[14:15], s[0:1]
	s_cbranch_execz .LBB0_7
; %bb.6:
	ds_write_b128 v187, v[44:47]
	ds_write_b128 v187, v[48:51] offset:16
.LBB0_7:
	s_or_b64 exec, exec, s[14:15]
	s_waitcnt lgkmcnt(0)
	s_barrier
	ds_read_b128 v[68:71], v182
	ds_read_b128 v[60:63], v182 offset:1408
	ds_read_b128 v[80:83], v182 offset:9152
	;; [unrolled: 1-line block ×9, first 2 shown]
	s_and_saveexec_b64 s[14:15], s[0:1]
	s_cbranch_execz .LBB0_9
; %bb.8:
	ds_read_b128 v[44:47], v182 offset:7040
	ds_read_b128 v[48:51], v182 offset:14784
.LBB0_9:
	s_or_b64 exec, exec, s[14:15]
	v_and_b32_e32 v185, 1, v181
	v_lshlrev_b32_e32 v40, 4, v185
	global_load_dwordx4 v[40:43], v40, s[4:5]
	s_movk_i32 s12, 0xfc
	v_lshlrev_b32_e32 v184, 1, v92
	s_waitcnt vmcnt(0) lgkmcnt(0)
	s_barrier
	v_mul_f64 v[93:94], v[90:91], v[42:43]
	v_fma_f64 v[93:94], v[88:89], v[40:41], -v[93:94]
	v_mul_f64 v[88:89], v[88:89], v[42:43]
	v_fma_f64 v[88:89], v[90:91], v[40:41], v[88:89]
	v_mul_f64 v[90:91], v[82:83], v[42:43]
	v_fma_f64 v[90:91], v[80:81], v[40:41], -v[90:91]
	v_mul_f64 v[80:81], v[80:81], v[42:43]
	v_fma_f64 v[80:81], v[82:83], v[40:41], v[80:81]
	;; [unrolled: 4-line block ×3, first 2 shown]
	v_mul_f64 v[76:77], v[86:87], v[42:43]
	v_add_f64 v[78:79], v[62:63], -v[80:81]
	v_add_f64 v[80:81], v[64:65], -v[82:83]
	;; [unrolled: 1-line block ×3, first 2 shown]
	v_fma_f64 v[103:104], v[84:85], v[40:41], -v[76:77]
	v_mul_f64 v[76:77], v[84:85], v[42:43]
	v_fma_f64 v[62:63], v[62:63], 2.0, -v[78:79]
	v_fma_f64 v[64:65], v[64:65], 2.0, -v[80:81]
	v_fma_f64 v[66:67], v[66:67], 2.0, -v[82:83]
	v_add_f64 v[84:85], v[56:57], -v[103:104]
	v_fma_f64 v[86:87], v[86:87], v[40:41], v[76:77]
	v_mul_f64 v[76:77], v[74:75], v[42:43]
	v_fma_f64 v[56:57], v[56:57], 2.0, -v[84:85]
	v_add_f64 v[86:87], v[58:59], -v[86:87]
	v_fma_f64 v[105:106], v[72:73], v[40:41], -v[76:77]
	v_mul_f64 v[72:73], v[72:73], v[42:43]
	v_add_f64 v[76:77], v[60:61], -v[90:91]
	v_fma_f64 v[58:59], v[58:59], 2.0, -v[86:87]
	v_fma_f64 v[107:108], v[74:75], v[40:41], v[72:73]
	v_mul_f64 v[72:73], v[50:51], v[42:43]
	v_add_f64 v[74:75], v[70:71], -v[88:89]
	v_add_f64 v[88:89], v[52:53], -v[105:106]
	v_fma_f64 v[60:61], v[60:61], 2.0, -v[76:77]
	v_add_f64 v[90:91], v[54:55], -v[107:108]
	v_fma_f64 v[109:110], v[48:49], v[40:41], -v[72:73]
	v_mul_f64 v[48:49], v[48:49], v[42:43]
	v_add_f64 v[72:73], v[68:69], -v[93:94]
	v_fma_f64 v[101:102], v[52:53], 2.0, -v[88:89]
	v_fma_f64 v[70:71], v[70:71], 2.0, -v[74:75]
	;; [unrolled: 1-line block ×3, first 2 shown]
	v_add_f64 v[52:53], v[44:45], -v[109:110]
	v_fma_f64 v[48:49], v[50:51], v[40:41], v[48:49]
	v_fma_f64 v[68:69], v[68:69], 2.0, -v[72:73]
	v_add_f64 v[54:55], v[46:47], -v[48:49]
	v_fma_f64 v[48:49], v[44:45], 2.0, -v[52:53]
	v_and_or_b32 v44, v96, s12, v185
	s_movk_i32 s12, 0x1fc
	v_lshl_add_u32 v193, v44, 4, v183
	v_and_or_b32 v44, v100, s12, v185
	s_movk_i32 s12, 0x3fc
	v_lshl_add_u32 v194, v44, 4, v183
	v_fma_f64 v[50:51], v[46:47], 2.0, -v[54:55]
	v_and_or_b32 v44, v99, s12, v185
	v_lshl_add_u32 v195, v44, 4, v183
	v_and_or_b32 v44, v98, s12, v185
	v_lshl_add_u32 v196, v44, 4, v183
	;; [unrolled: 2-line block ×3, first 2 shown]
	ds_write_b128 v193, v[68:71]
	ds_write_b128 v193, v[72:75] offset:32
	ds_write_b128 v194, v[60:63]
	ds_write_b128 v194, v[76:79] offset:32
	ds_write_b128 v195, v[64:67]
	ds_write_b128 v195, v[80:83] offset:32
	ds_write_b128 v196, v[56:59]
	ds_write_b128 v196, v[84:87] offset:32
	ds_write_b128 v197, v[101:104]
	ds_write_b128 v197, v[88:91] offset:32
	s_and_saveexec_b64 s[14:15], s[0:1]
	s_cbranch_execz .LBB0_11
; %bb.10:
	v_and_or_b32 v44, v184, s12, v185
	v_lshl_add_u32 v44, v44, 4, v183
	ds_write_b128 v44, v[48:51]
	ds_write_b128 v44, v[52:55] offset:32
.LBB0_11:
	s_or_b64 exec, exec, s[14:15]
	s_waitcnt lgkmcnt(0)
	s_barrier
	ds_read_b128 v[72:75], v182
	ds_read_b128 v[64:67], v182 offset:1408
	ds_read_b128 v[84:87], v182 offset:9152
	;; [unrolled: 1-line block ×9, first 2 shown]
	s_and_saveexec_b64 s[14:15], s[0:1]
	s_cbranch_execz .LBB0_13
; %bb.12:
	ds_read_b128 v[48:51], v182 offset:7040
	ds_read_b128 v[52:55], v182 offset:14784
.LBB0_13:
	s_or_b64 exec, exec, s[14:15]
	v_and_b32_e32 v186, 3, v181
	v_lshlrev_b32_e32 v44, 4, v186
	global_load_dwordx4 v[44:47], v44, s[4:5] offset:32
	s_movk_i32 s12, 0xf8
	v_and_or_b32 v96, v96, s12, v186
	v_lshl_add_u32 v198, v96, 4, v183
	s_movk_i32 s12, 0x1f8
	s_waitcnt vmcnt(0) lgkmcnt(0)
	s_barrier
	v_mul_f64 v[101:102], v[94:95], v[46:47]
	v_fma_f64 v[101:102], v[92:93], v[44:45], -v[101:102]
	v_mul_f64 v[92:93], v[92:93], v[46:47]
	v_fma_f64 v[92:93], v[94:95], v[44:45], v[92:93]
	v_mul_f64 v[94:95], v[86:87], v[46:47]
	v_fma_f64 v[94:95], v[84:85], v[44:45], -v[94:95]
	v_mul_f64 v[84:85], v[84:85], v[46:47]
	v_fma_f64 v[84:85], v[86:87], v[44:45], v[84:85]
	;; [unrolled: 4-line block ×3, first 2 shown]
	v_mul_f64 v[80:81], v[90:91], v[46:47]
	v_add_f64 v[82:83], v[70:71], -v[82:83]
	v_fma_f64 v[103:104], v[88:89], v[44:45], -v[80:81]
	v_mul_f64 v[80:81], v[88:89], v[46:47]
	v_fma_f64 v[70:71], v[70:71], 2.0, -v[82:83]
	v_fma_f64 v[88:89], v[90:91], v[44:45], v[80:81]
	v_mul_f64 v[80:81], v[78:79], v[46:47]
	v_fma_f64 v[90:91], v[76:77], v[44:45], -v[80:81]
	v_mul_f64 v[76:77], v[76:77], v[46:47]
	v_add_f64 v[80:81], v[68:69], -v[86:87]
	v_add_f64 v[86:87], v[62:63], -v[88:89]
	v_fma_f64 v[105:106], v[78:79], v[44:45], v[76:77]
	v_mul_f64 v[76:77], v[54:55], v[46:47]
	v_add_f64 v[78:79], v[66:67], -v[84:85]
	v_add_f64 v[84:85], v[60:61], -v[103:104]
	v_fma_f64 v[68:69], v[68:69], 2.0, -v[80:81]
	v_fma_f64 v[62:63], v[62:63], 2.0, -v[86:87]
	v_fma_f64 v[107:108], v[52:53], v[44:45], -v[76:77]
	v_mul_f64 v[52:53], v[52:53], v[46:47]
	v_add_f64 v[76:77], v[64:65], -v[94:95]
	v_add_f64 v[94:95], v[58:59], -v[105:106]
	v_fma_f64 v[66:67], v[66:67], 2.0, -v[78:79]
	v_fma_f64 v[60:61], v[60:61], 2.0, -v[84:85]
	v_add_f64 v[88:89], v[48:49], -v[107:108]
	v_fma_f64 v[109:110], v[54:55], v[44:45], v[52:53]
	v_add_f64 v[52:53], v[72:73], -v[101:102]
	v_add_f64 v[54:55], v[74:75], -v[92:93]
	;; [unrolled: 1-line block ×3, first 2 shown]
	v_fma_f64 v[64:65], v[64:65], 2.0, -v[76:77]
	v_fma_f64 v[58:59], v[58:59], 2.0, -v[94:95]
	v_add_f64 v[90:91], v[50:51], -v[109:110]
	v_fma_f64 v[72:73], v[72:73], 2.0, -v[52:53]
	v_fma_f64 v[74:75], v[74:75], 2.0, -v[54:55]
	;; [unrolled: 1-line block ×3, first 2 shown]
	ds_write_b128 v198, v[72:75]
	ds_write_b128 v198, v[52:55] offset:64
	v_and_or_b32 v52, v100, s12, v186
	s_movk_i32 s12, 0x3f8
	v_lshl_add_u32 v199, v52, 4, v183
	v_and_or_b32 v52, v99, s12, v186
	v_lshl_add_u32 v200, v52, 4, v183
	v_and_or_b32 v52, v98, s12, v186
	;; [unrolled: 2-line block ×3, first 2 shown]
	v_lshl_add_u32 v202, v52, 4, v183
	ds_write_b128 v199, v[64:67]
	ds_write_b128 v199, v[76:79] offset:64
	ds_write_b128 v200, v[68:71]
	ds_write_b128 v200, v[80:83] offset:64
	;; [unrolled: 2-line block ×4, first 2 shown]
	s_and_saveexec_b64 s[14:15], s[0:1]
	s_cbranch_execz .LBB0_15
; %bb.14:
	v_fma_f64 v[50:51], v[50:51], 2.0, -v[90:91]
	v_fma_f64 v[48:49], v[48:49], 2.0, -v[88:89]
	v_and_or_b32 v52, v184, s12, v186
	v_lshl_add_u32 v52, v52, 4, v183
	ds_write_b128 v52, v[48:51]
	ds_write_b128 v52, v[88:91] offset:64
.LBB0_15:
	s_or_b64 exec, exec, s[14:15]
	v_mov_b32_e32 v97, s5
	v_and_b32_e32 v114, 7, v181
	s_movk_i32 s12, 0xa0
	v_mov_b32_e32 v96, s4
	v_mad_u64_u32 v[92:93], s[4:5], v114, s12, v[96:97]
	s_waitcnt lgkmcnt(0)
	s_barrier
	global_load_dwordx4 v[84:87], v[92:93], off offset:96
	global_load_dwordx4 v[76:79], v[92:93], off offset:112
	;; [unrolled: 1-line block ×10, first 2 shown]
	ds_read_b128 v[92:95], v182 offset:1408
	ds_read_b128 v[98:101], v182 offset:2816
	;; [unrolled: 1-line block ×10, first 2 shown]
	s_mov_b32 s24, 0xf8bb580b
	s_mov_b32 s34, 0x8eee2c13
	;; [unrolled: 1-line block ×28, first 2 shown]
	s_waitcnt vmcnt(9) lgkmcnt(9)
	v_mul_f64 v[135:136], v[94:95], v[86:87]
	v_mul_f64 v[137:138], v[92:93], v[86:87]
	s_waitcnt vmcnt(8) lgkmcnt(8)
	v_mul_f64 v[141:142], v[98:99], v[78:79]
	s_waitcnt vmcnt(7) lgkmcnt(7)
	v_mul_f64 v[143:144], v[104:105], v[62:63]
	v_mul_f64 v[145:146], v[102:103], v[62:63]
	s_waitcnt vmcnt(6) lgkmcnt(6)
	v_mul_f64 v[149:150], v[106:107], v[54:55]
	s_waitcnt vmcnt(5) lgkmcnt(5)
	;; [unrolled: 2-line block ×3, first 2 shown]
	v_mul_f64 v[155:156], v[117:118], v[66:67]
	v_fma_f64 v[135:136], v[92:93], v[84:85], -v[135:136]
	s_waitcnt vmcnt(1) lgkmcnt(0)
	v_mul_f64 v[92:93], v[131:132], v[74:75]
	v_fma_f64 v[137:138], v[94:95], v[84:85], v[137:138]
	v_mul_f64 v[94:95], v[133:134], v[74:75]
	v_mul_f64 v[157:158], v[115:116], v[66:67]
	;; [unrolled: 1-line block ×5, first 2 shown]
	s_waitcnt vmcnt(0)
	v_mul_f64 v[169:170], v[127:128], v[70:71]
	v_fma_f64 v[133:134], v[133:134], v[72:73], v[92:93]
	v_mul_f64 v[139:140], v[100:101], v[78:79]
	v_fma_f64 v[131:132], v[131:132], v[72:73], -v[94:95]
	v_mul_f64 v[147:148], v[108:109], v[54:55]
	v_mul_f64 v[151:152], v[112:113], v[82:83]
	;; [unrolled: 1-line block ×3, first 2 shown]
	v_fma_f64 v[141:142], v[100:101], v[76:77], v[141:142]
	v_mul_f64 v[167:168], v[129:130], v[70:71]
	v_add_f64 v[92:93], v[137:138], -v[133:134]
	v_fma_f64 v[143:144], v[102:103], v[60:61], -v[143:144]
	v_fma_f64 v[145:146], v[104:105], v[60:61], v[145:146]
	v_fma_f64 v[108:109], v[108:109], v[52:53], v[149:150]
	;; [unrolled: 1-line block ×3, first 2 shown]
	v_fma_f64 v[102:103], v[115:116], v[64:65], -v[155:156]
	v_fma_f64 v[104:105], v[117:118], v[64:65], v[157:158]
	v_add_f64 v[94:95], v[135:136], -v[131:132]
	v_fma_f64 v[112:113], v[121:122], v[56:57], v[161:162]
	v_fma_f64 v[115:116], v[123:124], v[48:49], -v[163:164]
	v_fma_f64 v[117:118], v[125:126], v[48:49], v[165:166]
	v_fma_f64 v[121:122], v[129:130], v[68:69], v[169:170]
	v_add_f64 v[123:124], v[135:136], v[131:132]
	v_mul_f64 v[125:126], v[92:93], s[24:25]
	v_mul_f64 v[129:130], v[92:93], s[34:35]
	;; [unrolled: 1-line block ×5, first 2 shown]
	v_fma_f64 v[139:140], v[98:99], v[76:77], -v[139:140]
	v_fma_f64 v[106:107], v[106:107], v[52:53], -v[147:148]
	;; [unrolled: 1-line block ×5, first 2 shown]
	v_mul_f64 v[127:128], v[94:95], s[24:25]
	v_mul_f64 v[147:148], v[94:95], s[34:35]
	;; [unrolled: 1-line block ×3, first 2 shown]
	v_fma_f64 v[155:156], v[123:124], s[4:5], -v[125:126]
	v_fma_f64 v[125:126], v[123:124], s[4:5], v[125:126]
	v_fma_f64 v[157:158], v[123:124], s[14:15], -v[129:130]
	v_fma_f64 v[129:130], v[123:124], s[14:15], v[129:130]
	;; [unrolled: 2-line block ×5, first 2 shown]
	v_mul_f64 v[92:93], v[94:95], s[22:23]
	v_mul_f64 v[94:95], v[94:95], s[28:29]
	v_add_f64 v[165:166], v[137:138], v[133:134]
	v_fma_f64 v[167:168], v[165:166], s[4:5], v[127:128]
	v_fma_f64 v[127:128], v[165:166], s[4:5], -v[127:128]
	v_fma_f64 v[169:170], v[165:166], s[14:15], v[147:148]
	v_fma_f64 v[147:148], v[165:166], s[14:15], -v[147:148]
	;; [unrolled: 2-line block ×5, first 2 shown]
	ds_read_b128 v[92:95], v182
	s_waitcnt lgkmcnt(0)
	s_barrier
	v_add_f64 v[135:136], v[92:93], v[135:136]
	v_add_f64 v[137:138], v[94:95], v[137:138]
	v_add_f64 v[155:156], v[92:93], v[155:156]
	v_add_f64 v[125:126], v[92:93], v[125:126]
	v_add_f64 v[157:158], v[92:93], v[157:158]
	v_add_f64 v[129:130], v[92:93], v[129:130]
	v_add_f64 v[159:160], v[92:93], v[159:160]
	v_add_f64 v[149:150], v[92:93], v[149:150]
	v_add_f64 v[161:162], v[92:93], v[161:162]
	v_add_f64 v[153:154], v[92:93], v[153:154]
	v_add_f64 v[163:164], v[92:93], v[163:164]
	v_add_f64 v[123:124], v[92:93], v[123:124]
	v_add_f64 v[92:93], v[135:136], v[139:140]
	v_add_f64 v[167:168], v[94:95], v[167:168]
	v_add_f64 v[127:128], v[94:95], v[127:128]
	v_add_f64 v[169:170], v[94:95], v[169:170]
	v_add_f64 v[147:148], v[94:95], v[147:148]
	v_add_f64 v[171:172], v[94:95], v[171:172]
	v_add_f64 v[151:152], v[94:95], v[151:152]
	v_add_f64 v[173:174], v[94:95], v[173:174]
	v_add_f64 v[177:178], v[94:95], v[177:178]
	v_add_f64 v[203:204], v[94:95], v[203:204]
	v_add_f64 v[165:166], v[94:95], v[165:166]
	v_add_f64 v[94:95], v[137:138], v[141:142]
	v_add_f64 v[92:93], v[92:93], v[143:144]
	v_add_f64 v[94:95], v[94:95], v[145:146]
	v_add_f64 v[92:93], v[92:93], v[106:107]
	v_add_f64 v[94:95], v[94:95], v[108:109]
	v_add_f64 v[92:93], v[92:93], v[98:99]
	v_add_f64 v[94:95], v[94:95], v[100:101]
	v_add_f64 v[92:93], v[92:93], v[102:103]
	v_add_f64 v[94:95], v[94:95], v[104:105]
	v_add_f64 v[92:93], v[92:93], v[110:111]
	v_add_f64 v[94:95], v[94:95], v[112:113]
	v_add_f64 v[92:93], v[92:93], v[115:116]
	v_add_f64 v[94:95], v[94:95], v[117:118]
	v_add_f64 v[92:93], v[92:93], v[119:120]
	v_add_f64 v[94:95], v[94:95], v[121:122]
	v_add_f64 v[92:93], v[92:93], v[131:132]
	v_add_f64 v[131:132], v[141:142], -v[121:122]
	v_add_f64 v[121:122], v[141:142], v[121:122]
	v_add_f64 v[94:95], v[94:95], v[133:134]
	;; [unrolled: 1-line block ×3, first 2 shown]
	v_add_f64 v[119:120], v[139:140], -v[119:120]
	v_mul_f64 v[135:136], v[131:132], s[34:35]
	v_mul_f64 v[139:140], v[119:120], s[34:35]
	v_fma_f64 v[137:138], v[133:134], s[14:15], -v[135:136]
	v_fma_f64 v[135:136], v[133:134], s[14:15], v[135:136]
	v_fma_f64 v[141:142], v[121:122], s[14:15], v[139:140]
	v_add_f64 v[137:138], v[137:138], v[155:156]
	v_add_f64 v[125:126], v[135:136], v[125:126]
	v_fma_f64 v[135:136], v[121:122], s[14:15], -v[139:140]
	v_mul_f64 v[155:156], v[119:120], s[22:23]
	v_add_f64 v[141:142], v[141:142], v[167:168]
	v_add_f64 v[127:128], v[135:136], v[127:128]
	v_mul_f64 v[135:136], v[131:132], s[22:23]
	v_fma_f64 v[139:140], v[133:134], s[18:19], -v[135:136]
	v_fma_f64 v[135:136], v[133:134], s[18:19], v[135:136]
	v_add_f64 v[139:140], v[139:140], v[157:158]
	v_add_f64 v[129:130], v[135:136], v[129:130]
	v_fma_f64 v[135:136], v[121:122], s[18:19], -v[155:156]
	v_fma_f64 v[157:158], v[121:122], s[18:19], v[155:156]
	v_add_f64 v[135:136], v[135:136], v[147:148]
	v_mul_f64 v[147:148], v[131:132], s[40:41]
	v_add_f64 v[157:158], v[157:158], v[169:170]
	v_fma_f64 v[155:156], v[133:134], s[26:27], -v[147:148]
	v_fma_f64 v[147:148], v[133:134], s[26:27], v[147:148]
	v_add_f64 v[155:156], v[155:156], v[159:160]
	v_mul_f64 v[159:160], v[119:120], s[40:41]
	;; [unrolled: 5-line block ×3, first 2 shown]
	v_mul_f64 v[131:132], v[131:132], s[30:31]
	v_add_f64 v[167:168], v[167:168], v[171:172]
	v_fma_f64 v[159:160], v[133:134], s[16:17], -v[151:152]
	v_fma_f64 v[151:152], v[133:134], s[16:17], v[151:152]
	v_add_f64 v[159:160], v[159:160], v[161:162]
	v_mul_f64 v[161:162], v[119:120], s[36:37]
	v_add_f64 v[151:152], v[151:152], v[153:154]
	v_mul_f64 v[119:120], v[119:120], s[30:31]
	v_fma_f64 v[169:170], v[121:122], s[16:17], v[161:162]
	v_fma_f64 v[153:154], v[121:122], s[16:17], -v[161:162]
	v_fma_f64 v[161:162], v[133:134], s[4:5], -v[131:132]
	v_fma_f64 v[131:132], v[133:134], s[4:5], v[131:132]
	v_add_f64 v[133:134], v[145:146], -v[117:118]
	v_add_f64 v[117:118], v[145:146], v[117:118]
	v_add_f64 v[169:170], v[169:170], v[173:174]
	;; [unrolled: 1-line block ×4, first 2 shown]
	v_fma_f64 v[163:164], v[121:122], s[4:5], v[119:120]
	v_fma_f64 v[119:120], v[121:122], s[4:5], -v[119:120]
	v_add_f64 v[121:122], v[143:144], -v[115:116]
	v_add_f64 v[115:116], v[143:144], v[115:116]
	v_add_f64 v[123:124], v[131:132], v[123:124]
	v_mul_f64 v[131:132], v[133:134], s[20:21]
	v_add_f64 v[163:164], v[163:164], v[203:204]
	v_add_f64 v[119:120], v[119:120], v[165:166]
	v_fma_f64 v[143:144], v[115:116], s[16:17], -v[131:132]
	v_fma_f64 v[131:132], v[115:116], s[16:17], v[131:132]
	v_add_f64 v[137:138], v[143:144], v[137:138]
	v_mul_f64 v[143:144], v[121:122], s[20:21]
	v_add_f64 v[125:126], v[131:132], v[125:126]
	v_fma_f64 v[131:132], v[117:118], s[16:17], -v[143:144]
	v_fma_f64 v[145:146], v[117:118], s[16:17], v[143:144]
	v_add_f64 v[127:128], v[131:132], v[127:128]
	v_mul_f64 v[131:132], v[133:134], s[40:41]
	v_add_f64 v[141:142], v[145:146], v[141:142]
	v_fma_f64 v[143:144], v[115:116], s[26:27], -v[131:132]
	v_fma_f64 v[131:132], v[115:116], s[26:27], v[131:132]
	v_add_f64 v[139:140], v[143:144], v[139:140]
	v_mul_f64 v[143:144], v[121:122], s[40:41]
	v_add_f64 v[129:130], v[131:132], v[129:130]
	v_fma_f64 v[131:132], v[117:118], s[26:27], -v[143:144]
	v_fma_f64 v[145:146], v[117:118], s[26:27], v[143:144]
	v_add_f64 v[131:132], v[131:132], v[135:136]
	v_mul_f64 v[135:136], v[133:134], s[38:39]
	v_add_f64 v[145:146], v[145:146], v[157:158]
	v_fma_f64 v[143:144], v[115:116], s[14:15], -v[135:136]
	v_fma_f64 v[135:136], v[115:116], s[14:15], v[135:136]
	v_add_f64 v[143:144], v[143:144], v[155:156]
	v_mul_f64 v[155:156], v[121:122], s[38:39]
	v_add_f64 v[135:136], v[135:136], v[147:148]
	v_fma_f64 v[147:148], v[117:118], s[14:15], -v[155:156]
	v_fma_f64 v[157:158], v[117:118], s[14:15], v[155:156]
	v_add_f64 v[147:148], v[147:148], v[149:150]
	v_mul_f64 v[149:150], v[133:134], s[24:25]
	v_mul_f64 v[133:134], v[133:134], s[22:23]
	v_add_f64 v[157:158], v[157:158], v[167:168]
	v_fma_f64 v[155:156], v[115:116], s[4:5], -v[149:150]
	v_fma_f64 v[149:150], v[115:116], s[4:5], v[149:150]
	v_add_f64 v[155:156], v[155:156], v[159:160]
	v_mul_f64 v[159:160], v[121:122], s[24:25]
	v_add_f64 v[149:150], v[149:150], v[151:152]
	v_mul_f64 v[121:122], v[121:122], s[22:23]
	v_fma_f64 v[151:152], v[117:118], s[4:5], -v[159:160]
	v_fma_f64 v[165:166], v[117:118], s[4:5], v[159:160]
	v_fma_f64 v[159:160], v[117:118], s[18:19], v[121:122]
	v_fma_f64 v[117:118], v[117:118], s[18:19], -v[121:122]
	v_add_f64 v[151:152], v[151:152], v[153:154]
	v_add_f64 v[153:154], v[106:107], -v[110:111]
	v_add_f64 v[106:107], v[106:107], v[110:111]
	v_add_f64 v[110:111], v[108:109], -v[112:113]
	v_add_f64 v[108:109], v[108:109], v[112:113]
	v_fma_f64 v[112:113], v[115:116], s[18:19], -v[133:134]
	v_fma_f64 v[115:116], v[115:116], s[18:19], v[133:134]
	v_add_f64 v[117:118], v[117:118], v[119:120]
	v_add_f64 v[165:166], v[165:166], v[169:170]
	v_mul_f64 v[121:122], v[153:154], s[22:23]
	v_add_f64 v[159:160], v[159:160], v[163:164]
	v_mul_f64 v[133:134], v[110:111], s[22:23]
	v_mul_f64 v[119:120], v[110:111], s[36:37]
	v_add_f64 v[112:113], v[112:113], v[161:162]
	v_add_f64 v[115:116], v[115:116], v[123:124]
	;; [unrolled: 1-line block ×3, first 2 shown]
	v_fma_f64 v[123:124], v[108:109], s[18:19], v[121:122]
	v_fma_f64 v[121:122], v[108:109], s[18:19], -v[121:122]
	v_fma_f64 v[161:162], v[106:107], s[18:19], -v[133:134]
	v_fma_f64 v[133:134], v[106:107], s[18:19], v[133:134]
	v_add_f64 v[123:124], v[123:124], v[141:142]
	v_fma_f64 v[141:142], v[106:107], s[16:17], -v[119:120]
	v_add_f64 v[137:138], v[161:162], v[137:138]
	v_mul_f64 v[161:162], v[153:154], s[36:37]
	v_add_f64 v[125:126], v[133:134], v[125:126]
	v_add_f64 v[121:122], v[121:122], v[127:128]
	v_mul_f64 v[127:128], v[110:111], s[24:25]
	v_fma_f64 v[119:120], v[106:107], s[16:17], v[119:120]
	v_add_f64 v[139:140], v[141:142], v[139:140]
	v_mul_f64 v[141:142], v[153:154], s[24:25]
	v_fma_f64 v[133:134], v[108:109], s[16:17], v[161:162]
	v_fma_f64 v[161:162], v[108:109], s[16:17], -v[161:162]
	v_add_f64 v[119:120], v[119:120], v[129:130]
	v_mul_f64 v[129:130], v[110:111], s[28:29]
	v_mul_f64 v[110:111], v[110:111], s[38:39]
	v_add_f64 v[133:134], v[133:134], v[145:146]
	v_fma_f64 v[145:146], v[106:107], s[4:5], -v[127:128]
	v_add_f64 v[131:132], v[161:162], v[131:132]
	v_fma_f64 v[161:162], v[108:109], s[4:5], v[141:142]
	v_fma_f64 v[127:128], v[106:107], s[4:5], v[127:128]
	v_fma_f64 v[141:142], v[108:109], s[4:5], -v[141:142]
	v_add_f64 v[143:144], v[145:146], v[143:144]
	v_mul_f64 v[145:146], v[153:154], s[28:29]
	v_add_f64 v[157:158], v[161:162], v[157:158]
	v_fma_f64 v[161:162], v[106:107], s[26:27], -v[129:130]
	v_add_f64 v[127:128], v[127:128], v[135:136]
	v_add_f64 v[141:142], v[141:142], v[147:148]
	v_mul_f64 v[153:154], v[153:154], s[38:39]
	v_fma_f64 v[129:130], v[106:107], s[26:27], v[129:130]
	v_fma_f64 v[135:136], v[108:109], s[26:27], v[145:146]
	v_fma_f64 v[145:146], v[108:109], s[26:27], -v[145:146]
	v_add_f64 v[147:148], v[161:162], v[155:156]
	v_add_f64 v[155:156], v[100:101], -v[104:105]
	v_add_f64 v[161:162], v[98:99], -v[102:103]
	v_fma_f64 v[98:99], v[106:107], s[14:15], -v[110:111]
	v_add_f64 v[129:130], v[129:130], v[149:150]
	v_fma_f64 v[106:107], v[106:107], s[14:15], v[110:111]
	v_add_f64 v[135:136], v[135:136], v[165:166]
	v_add_f64 v[165:166], v[100:101], v[104:105]
	v_fma_f64 v[100:101], v[108:109], s[14:15], v[153:154]
	v_mul_f64 v[102:103], v[155:156], s[28:29]
	v_mul_f64 v[104:105], v[161:162], s[28:29]
	v_fma_f64 v[108:109], v[108:109], s[14:15], -v[153:154]
	v_add_f64 v[145:146], v[145:146], v[151:152]
	v_add_f64 v[151:152], v[98:99], v[112:113]
	v_mul_f64 v[112:113], v[155:156], s[30:31]
	v_add_f64 v[167:168], v[106:107], v[115:116]
	v_add_f64 v[153:154], v[100:101], v[159:160]
	v_fma_f64 v[110:111], v[163:164], s[26:27], -v[102:103]
	v_fma_f64 v[149:150], v[165:166], s[26:27], v[104:105]
	v_mul_f64 v[159:160], v[161:162], s[30:31]
	v_add_f64 v[169:170], v[108:109], v[117:118]
	v_mul_f64 v[117:118], v[161:162], s[22:23]
	v_fma_f64 v[102:103], v[163:164], s[26:27], v[102:103]
	v_fma_f64 v[104:105], v[165:166], s[26:27], -v[104:105]
	v_fma_f64 v[106:107], v[163:164], s[4:5], -v[112:113]
	v_add_f64 v[98:99], v[110:111], v[137:138]
	v_add_f64 v[100:101], v[149:150], v[123:124]
	v_fma_f64 v[108:109], v[165:166], s[4:5], v[159:160]
	v_mul_f64 v[115:116], v[155:156], s[22:23]
	v_fma_f64 v[110:111], v[163:164], s[4:5], v[112:113]
	v_fma_f64 v[112:113], v[165:166], s[4:5], -v[159:160]
	v_fma_f64 v[123:124], v[165:166], s[18:19], v[117:118]
	v_add_f64 v[102:103], v[102:103], v[125:126]
	v_add_f64 v[104:105], v[104:105], v[121:122]
	v_fma_f64 v[125:126], v[165:166], s[18:19], -v[117:118]
	v_add_f64 v[108:109], v[108:109], v[133:134]
	v_fma_f64 v[121:122], v[163:164], s[18:19], -v[115:116]
	v_add_f64 v[110:111], v[110:111], v[119:120]
	v_add_f64 v[112:113], v[112:113], v[131:132]
	v_fma_f64 v[119:120], v[163:164], s[18:19], v[115:116]
	v_mul_f64 v[131:132], v[155:156], s[38:39]
	v_mul_f64 v[133:134], v[161:162], s[38:39]
	v_add_f64 v[117:118], v[123:124], v[157:158]
	v_mul_f64 v[123:124], v[155:156], s[20:21]
	v_mul_f64 v[137:138], v[161:162], s[20:21]
	v_add_f64 v[106:107], v[106:107], v[139:140]
	v_add_f64 v[115:116], v[121:122], v[143:144]
	;; [unrolled: 1-line block ×4, first 2 shown]
	v_fma_f64 v[125:126], v[163:164], s[14:15], -v[131:132]
	v_fma_f64 v[127:128], v[165:166], s[14:15], v[133:134]
	v_fma_f64 v[131:132], v[163:164], s[14:15], v[131:132]
	v_fma_f64 v[139:140], v[163:164], s[16:17], -v[123:124]
	v_fma_f64 v[133:134], v[165:166], s[14:15], -v[133:134]
	v_fma_f64 v[141:142], v[165:166], s[16:17], v[137:138]
	v_fma_f64 v[143:144], v[163:164], s[16:17], v[123:124]
	v_fma_f64 v[137:138], v[165:166], s[16:17], -v[137:138]
	v_add_f64 v[123:124], v[125:126], v[147:148]
	v_add_f64 v[125:126], v[127:128], v[135:136]
	v_add_f64 v[127:128], v[131:132], v[129:130]
	v_add_f64 v[131:132], v[139:140], v[151:152]
	v_lshrrev_b32_e32 v139, 3, v181
	v_mad_u64_u32 v[148:149], s[42:43], v181, s12, v[96:97]
	v_add_f64 v[129:130], v[133:134], v[145:146]
	v_add_f64 v[133:134], v[141:142], v[153:154]
	v_mul_u32_u24_e32 v139, 0x58, v139
	v_add_f64 v[135:136], v[143:144], v[167:168]
	v_add_f64 v[137:138], v[137:138], v[169:170]
	v_or_b32_e32 v114, v139, v114
	v_lshl_add_u32 v203, v114, 4, v183
	ds_write_b128 v203, v[92:95]
	ds_write_b128 v203, v[98:101] offset:128
	ds_write_b128 v203, v[106:109] offset:256
	;; [unrolled: 1-line block ×10, first 2 shown]
	s_waitcnt lgkmcnt(0)
	s_barrier
	global_load_dwordx4 v[116:119], v[148:149], off offset:1376
	global_load_dwordx4 v[112:115], v[148:149], off offset:1392
	;; [unrolled: 1-line block ×8, first 2 shown]
	ds_read_b128 v[124:127], v182 offset:1408
	ds_read_b128 v[128:131], v182 offset:2816
	;; [unrolled: 1-line block ×6, first 2 shown]
	s_waitcnt vmcnt(7) lgkmcnt(5)
	v_mul_f64 v[150:151], v[126:127], v[118:119]
	s_waitcnt vmcnt(6) lgkmcnt(4)
	v_mul_f64 v[154:155], v[130:131], v[114:115]
	v_mul_f64 v[156:157], v[128:129], v[114:115]
	;; [unrolled: 1-line block ×3, first 2 shown]
	s_waitcnt vmcnt(5) lgkmcnt(3)
	v_mul_f64 v[158:159], v[134:135], v[98:99]
	v_mul_f64 v[160:161], v[132:133], v[98:99]
	v_fma_f64 v[150:151], v[124:125], v[116:117], -v[150:151]
	v_fma_f64 v[168:169], v[128:129], v[112:113], -v[154:155]
	s_waitcnt vmcnt(4) lgkmcnt(2)
	v_mul_f64 v[128:129], v[138:139], v[94:95]
	v_fma_f64 v[156:157], v[130:131], v[112:113], v[156:157]
	v_mul_f64 v[130:131], v[136:137], v[94:95]
	v_fma_f64 v[152:153], v[126:127], v[116:117], v[152:153]
	ds_read_b128 v[124:127], v182 offset:9856
	v_fma_f64 v[172:173], v[132:133], v[96:97], -v[158:159]
	v_fma_f64 v[158:159], v[134:135], v[96:97], v[160:161]
	s_waitcnt vmcnt(3) lgkmcnt(2)
	v_mul_f64 v[134:135], v[140:141], v[122:123]
	v_fma_f64 v[204:205], v[136:137], v[92:93], -v[128:129]
	s_waitcnt vmcnt(2) lgkmcnt(1)
	v_mul_f64 v[128:129], v[144:145], v[110:111]
	v_fma_f64 v[177:178], v[138:139], v[92:93], v[130:131]
	v_mul_f64 v[154:155], v[146:147], v[110:111]
	v_mul_f64 v[132:133], v[142:143], v[122:123]
	v_fma_f64 v[164:165], v[142:143], v[120:121], v[134:135]
	v_fma_f64 v[166:167], v[146:147], v[108:109], v[128:129]
	ds_read_b128 v[128:131], v182 offset:11264
	s_waitcnt vmcnt(1) lgkmcnt(1)
	v_mul_f64 v[136:137], v[126:127], v[106:107]
	v_mul_f64 v[138:139], v[124:125], v[106:107]
	v_fma_f64 v[134:135], v[144:145], v[108:109], -v[154:155]
	v_fma_f64 v[132:133], v[140:141], v[120:121], -v[132:133]
	;; [unrolled: 1-line block ×3, first 2 shown]
	v_fma_f64 v[208:209], v[126:127], v[104:105], v[138:139]
	s_waitcnt vmcnt(0) lgkmcnt(0)
	v_mul_f64 v[124:125], v[130:131], v[102:103]
	v_mul_f64 v[126:127], v[128:129], v[102:103]
	v_add_f64 v[250:251], v[132:133], v[134:135]
	v_add_f64 v[252:253], v[132:133], -v[134:135]
	v_fma_f64 v[210:211], v[128:129], v[100:101], -v[124:125]
	v_fma_f64 v[212:213], v[130:131], v[100:101], v[126:127]
	global_load_dwordx4 v[124:127], v[148:149], off offset:1504
	ds_read_b128 v[128:131], v182 offset:12672
	s_waitcnt vmcnt(0) lgkmcnt(0)
	v_mul_f64 v[136:137], v[130:131], v[126:127]
	v_fma_f64 v[170:171], v[128:129], v[124:125], -v[136:137]
	v_mul_f64 v[128:129], v[128:129], v[126:127]
	ds_read_b128 v[136:139], v182 offset:14080
	v_fma_f64 v[144:145], v[130:131], v[124:125], v[128:129]
	global_load_dwordx4 v[128:131], v[148:149], off offset:1520
	s_waitcnt vmcnt(0) lgkmcnt(0)
	v_mul_f64 v[140:141], v[138:139], v[130:131]
	v_fma_f64 v[146:147], v[136:137], v[128:129], -v[140:141]
	v_mul_f64 v[136:137], v[136:137], v[130:131]
	ds_read_b128 v[140:143], v182
	v_fma_f64 v[148:149], v[138:139], v[128:129], v[136:137]
	s_waitcnt lgkmcnt(0)
	v_add_f64 v[136:137], v[140:141], v[150:151]
	v_add_f64 v[138:139], v[142:143], v[152:153]
	v_add_f64 v[154:155], v[152:153], -v[148:149]
	v_add_f64 v[136:137], v[136:137], v[168:169]
	v_add_f64 v[138:139], v[138:139], v[156:157]
	v_mul_f64 v[160:161], v[154:155], s[34:35]
	v_add_f64 v[136:137], v[136:137], v[172:173]
	v_add_f64 v[138:139], v[138:139], v[158:159]
	v_mul_f64 v[162:163], v[154:155], s[20:21]
	v_mul_f64 v[174:175], v[154:155], s[22:23]
	v_add_f64 v[136:137], v[136:137], v[204:205]
	v_add_f64 v[138:139], v[138:139], v[177:178]
	;; [unrolled: 1-line block ×16, first 2 shown]
	v_add_f64 v[146:147], v[150:151], -v[146:147]
	v_mul_f64 v[150:151], v[154:155], s[24:25]
	v_mul_f64 v[154:155], v[154:155], s[28:29]
	v_fma_f64 v[216:217], v[152:153], s[14:15], -v[160:161]
	v_fma_f64 v[160:161], v[152:153], s[14:15], v[160:161]
	v_fma_f64 v[214:215], v[152:153], s[4:5], -v[150:151]
	v_fma_f64 v[150:151], v[152:153], s[4:5], v[150:151]
	;; [unrolled: 2-line block ×5, first 2 shown]
	v_mul_f64 v[154:155], v[146:147], s[24:25]
	v_mul_f64 v[174:175], v[146:147], s[34:35]
	;; [unrolled: 1-line block ×5, first 2 shown]
	v_add_f64 v[214:215], v[140:141], v[214:215]
	v_add_f64 v[240:241], v[140:141], v[150:151]
	;; [unrolled: 1-line block ×3, first 2 shown]
	v_fma_f64 v[230:231], v[148:149], s[4:5], v[154:155]
	v_fma_f64 v[154:155], v[148:149], s[4:5], -v[154:155]
	v_fma_f64 v[232:233], v[148:149], s[14:15], v[174:175]
	v_fma_f64 v[174:175], v[148:149], s[14:15], -v[174:175]
	v_fma_f64 v[234:235], v[148:149], s[16:17], v[226:227]
	v_fma_f64 v[226:227], v[148:149], s[16:17], -v[226:227]
	v_fma_f64 v[236:237], v[148:149], s[18:19], v[228:229]
	v_fma_f64 v[228:229], v[148:149], s[18:19], -v[228:229]
	v_fma_f64 v[238:239], v[148:149], s[26:27], v[146:147]
	v_fma_f64 v[146:147], v[148:149], s[26:27], -v[146:147]
	v_add_f64 v[242:243], v[142:143], v[154:155]
	v_add_f64 v[154:155], v[156:157], -v[144:145]
	v_add_f64 v[230:231], v[142:143], v[230:231]
	v_add_f64 v[232:233], v[142:143], v[232:233]
	v_add_f64 v[244:245], v[140:141], v[160:161]
	v_add_f64 v[246:247], v[142:143], v[174:175]
	v_add_f64 v[218:219], v[140:141], v[218:219]
	v_add_f64 v[234:235], v[142:143], v[234:235]
	v_add_f64 v[248:249], v[140:141], v[162:163]
	v_add_f64 v[226:227], v[142:143], v[226:227]
	v_add_f64 v[220:221], v[140:141], v[220:221]
	v_add_f64 v[174:175], v[142:143], v[236:237]
	v_add_f64 v[162:163], v[140:141], v[222:223]
	v_add_f64 v[160:161], v[142:143], v[228:229]
	v_add_f64 v[150:151], v[140:141], v[224:225]
	v_add_f64 v[148:149], v[142:143], v[238:239]
	v_add_f64 v[140:141], v[140:141], v[152:153]
	v_add_f64 v[142:143], v[142:143], v[146:147]
	v_add_f64 v[146:147], v[168:169], v[170:171]
	v_add_f64 v[152:153], v[168:169], -v[170:171]
	v_mul_f64 v[222:223], v[154:155], s[34:35]
	v_add_f64 v[144:145], v[156:157], v[144:145]
	v_add_f64 v[170:171], v[158:159], -v[212:213]
	v_add_f64 v[168:169], v[172:173], -v[210:211]
	;; [unrolled: 1-line block ×3, first 2 shown]
	v_add_f64 v[238:239], v[164:165], v[166:167]
	v_mul_f64 v[224:225], v[152:153], s[34:35]
	v_fma_f64 v[156:157], v[146:147], s[14:15], -v[222:223]
	v_add_f64 v[214:215], v[156:157], v[214:215]
	v_fma_f64 v[156:157], v[144:145], s[14:15], v[224:225]
	v_add_f64 v[228:229], v[156:157], v[230:231]
	v_add_f64 v[156:157], v[158:159], v[212:213]
	v_add_f64 v[158:159], v[172:173], v[210:211]
	v_mul_f64 v[210:211], v[170:171], s[20:21]
	v_add_f64 v[230:231], v[177:178], -v[208:209]
	v_fma_f64 v[172:173], v[158:159], s[16:17], -v[210:211]
	v_fma_f64 v[210:211], v[158:159], s[16:17], v[210:211]
	v_add_f64 v[212:213], v[172:173], v[214:215]
	v_mul_f64 v[214:215], v[168:169], s[20:21]
	v_fma_f64 v[172:173], v[156:157], s[16:17], v[214:215]
	v_add_f64 v[228:229], v[172:173], v[228:229]
	v_add_f64 v[172:173], v[177:178], v[208:209]
	;; [unrolled: 1-line block ×3, first 2 shown]
	v_mul_f64 v[204:205], v[230:231], s[22:23]
	v_mul_f64 v[208:209], v[236:237], s[22:23]
	v_fma_f64 v[206:207], v[177:178], s[18:19], -v[204:205]
	v_fma_f64 v[204:205], v[177:178], s[18:19], v[204:205]
	v_add_f64 v[206:207], v[206:207], v[212:213]
	v_fma_f64 v[212:213], v[172:173], s[18:19], v[208:209]
	v_add_f64 v[212:213], v[212:213], v[228:229]
	v_add_f64 v[228:229], v[164:165], -v[166:167]
	v_mul_f64 v[132:133], v[228:229], s[28:29]
	v_fma_f64 v[134:135], v[250:251], s[26:27], -v[132:133]
	v_fma_f64 v[132:133], v[250:251], s[26:27], v[132:133]
	v_add_f64 v[164:165], v[134:135], v[206:207]
	v_mul_f64 v[134:135], v[252:253], s[28:29]
	v_fma_f64 v[206:207], v[146:147], s[14:15], v[222:223]
	v_fma_f64 v[166:167], v[238:239], s[26:27], v[134:135]
	v_add_f64 v[206:207], v[206:207], v[240:241]
	v_fma_f64 v[134:135], v[238:239], s[26:27], -v[134:135]
	v_add_f64 v[166:167], v[166:167], v[212:213]
	v_fma_f64 v[212:213], v[144:145], s[14:15], -v[224:225]
	;; [unrolled: 2-line block ×3, first 2 shown]
	v_add_f64 v[212:213], v[212:213], v[242:243]
	v_add_f64 v[204:205], v[204:205], v[206:207]
	v_fma_f64 v[206:207], v[172:173], s[18:19], -v[208:209]
	v_mul_f64 v[208:209], v[154:155], s[22:23]
	v_add_f64 v[210:211], v[210:211], v[212:213]
	v_add_f64 v[132:133], v[132:133], v[204:205]
	v_mul_f64 v[212:213], v[170:171], s[40:41]
	v_fma_f64 v[204:205], v[146:147], s[18:19], -v[208:209]
	v_fma_f64 v[208:209], v[146:147], s[18:19], v[208:209]
	v_add_f64 v[206:207], v[206:207], v[210:211]
	v_mul_f64 v[210:211], v[152:153], s[22:23]
	v_fma_f64 v[214:215], v[158:159], s[26:27], -v[212:213]
	v_add_f64 v[204:205], v[204:205], v[216:217]
	v_add_f64 v[208:209], v[208:209], v[244:245]
	v_fma_f64 v[212:213], v[158:159], s[26:27], v[212:213]
	v_add_f64 v[134:135], v[134:135], v[206:207]
	v_fma_f64 v[206:207], v[144:145], s[18:19], v[210:211]
	v_fma_f64 v[210:211], v[144:145], s[18:19], -v[210:211]
	v_add_f64 v[204:205], v[214:215], v[204:205]
	v_mul_f64 v[214:215], v[168:169], s[40:41]
	v_add_f64 v[208:209], v[212:213], v[208:209]
	v_add_f64 v[206:207], v[206:207], v[232:233]
	;; [unrolled: 1-line block ×3, first 2 shown]
	v_mul_f64 v[246:247], v[252:253], s[38:39]
	v_fma_f64 v[216:217], v[156:157], s[26:27], v[214:215]
	v_fma_f64 v[212:213], v[156:157], s[26:27], -v[214:215]
	v_add_f64 v[206:207], v[216:217], v[206:207]
	v_mul_f64 v[216:217], v[230:231], s[36:37]
	v_add_f64 v[210:211], v[212:213], v[210:211]
	v_fma_f64 v[222:223], v[177:178], s[16:17], -v[216:217]
	v_fma_f64 v[212:213], v[177:178], s[16:17], v[216:217]
	v_mul_f64 v[216:217], v[154:155], s[40:41]
	v_add_f64 v[204:205], v[222:223], v[204:205]
	v_mul_f64 v[222:223], v[236:237], s[36:37]
	v_add_f64 v[208:209], v[212:213], v[208:209]
	v_fma_f64 v[224:225], v[172:173], s[16:17], v[222:223]
	v_fma_f64 v[212:213], v[172:173], s[16:17], -v[222:223]
	v_mul_f64 v[222:223], v[170:171], s[38:39]
	v_add_f64 v[206:207], v[224:225], v[206:207]
	v_mul_f64 v[224:225], v[228:229], s[30:31]
	v_add_f64 v[210:211], v[212:213], v[210:211]
	v_fma_f64 v[232:233], v[250:251], s[4:5], -v[224:225]
	v_fma_f64 v[212:213], v[250:251], s[4:5], v[224:225]
	v_fma_f64 v[224:225], v[158:159], s[14:15], -v[222:223]
	v_fma_f64 v[222:223], v[158:159], s[14:15], v[222:223]
	v_add_f64 v[204:205], v[232:233], v[204:205]
	v_mul_f64 v[232:233], v[252:253], s[30:31]
	v_add_f64 v[208:209], v[212:213], v[208:209]
	v_fma_f64 v[212:213], v[146:147], s[26:27], -v[216:217]
	v_fma_f64 v[216:217], v[146:147], s[26:27], v[216:217]
	v_fma_f64 v[214:215], v[238:239], s[4:5], -v[232:233]
	v_fma_f64 v[240:241], v[238:239], s[4:5], v[232:233]
	v_add_f64 v[212:213], v[212:213], v[218:219]
	v_mul_f64 v[218:219], v[152:153], s[40:41]
	v_add_f64 v[216:217], v[216:217], v[248:249]
	v_add_f64 v[210:211], v[214:215], v[210:211]
	;; [unrolled: 1-line block ×4, first 2 shown]
	v_fma_f64 v[214:215], v[144:145], s[26:27], v[218:219]
	v_mul_f64 v[224:225], v[168:169], s[38:39]
	v_fma_f64 v[218:219], v[144:145], s[26:27], -v[218:219]
	v_add_f64 v[216:217], v[222:223], v[216:217]
	v_add_f64 v[214:215], v[214:215], v[234:235]
	v_fma_f64 v[232:233], v[156:157], s[14:15], v[224:225]
	v_add_f64 v[218:219], v[218:219], v[226:227]
	v_fma_f64 v[222:223], v[156:157], s[14:15], -v[224:225]
	v_mul_f64 v[226:227], v[152:153], s[36:37]
	v_mul_f64 v[152:153], v[152:153], s[30:31]
	v_add_f64 v[214:215], v[232:233], v[214:215]
	v_mul_f64 v[232:233], v[230:231], s[24:25]
	v_add_f64 v[218:219], v[222:223], v[218:219]
	v_fma_f64 v[234:235], v[177:178], s[4:5], -v[232:233]
	v_fma_f64 v[222:223], v[177:178], s[4:5], v[232:233]
	v_mul_f64 v[232:233], v[170:171], s[24:25]
	v_mul_f64 v[170:171], v[170:171], s[22:23]
	v_add_f64 v[212:213], v[234:235], v[212:213]
	v_mul_f64 v[234:235], v[236:237], s[24:25]
	v_add_f64 v[216:217], v[222:223], v[216:217]
	v_fma_f64 v[240:241], v[172:173], s[4:5], v[234:235]
	v_fma_f64 v[222:223], v[172:173], s[4:5], -v[234:235]
	v_mul_f64 v[234:235], v[168:169], s[24:25]
	v_mul_f64 v[168:169], v[168:169], s[22:23]
	v_add_f64 v[214:215], v[240:241], v[214:215]
	v_mul_f64 v[240:241], v[228:229], s[22:23]
	v_add_f64 v[218:219], v[222:223], v[218:219]
	v_fma_f64 v[242:243], v[250:251], s[18:19], -v[240:241]
	v_fma_f64 v[222:223], v[250:251], s[18:19], v[240:241]
	v_mul_f64 v[240:241], v[230:231], s[28:29]
	v_add_f64 v[212:213], v[242:243], v[212:213]
	v_mul_f64 v[242:243], v[252:253], s[22:23]
	v_add_f64 v[216:217], v[222:223], v[216:217]
	v_fma_f64 v[224:225], v[238:239], s[18:19], -v[242:243]
	v_fma_f64 v[244:245], v[238:239], s[18:19], v[242:243]
	v_mul_f64 v[242:243], v[236:237], s[28:29]
	v_add_f64 v[218:219], v[224:225], v[218:219]
	v_mul_f64 v[224:225], v[154:155], s[36:37]
	v_add_f64 v[214:215], v[244:245], v[214:215]
	v_mul_f64 v[244:245], v[228:229], s[38:39]
	v_mul_f64 v[154:155], v[154:155], s[30:31]
	;; [unrolled: 1-line block ×3, first 2 shown]
	ds_write_b128 v182, v[136:139]
	ds_write_b128 v182, v[164:167] offset:1408
	ds_write_b128 v182, v[204:207] offset:2816
	;; [unrolled: 1-line block ×3, first 2 shown]
	v_mov_b32_e32 v136, s13
	v_fma_f64 v[222:223], v[146:147], s[16:17], -v[224:225]
	v_addc_co_u32_e64 v212, vcc, 0, v136, s[2:3]
	s_movk_i32 s2, 0x5000
	v_add_f64 v[220:221], v[222:223], v[220:221]
	v_fma_f64 v[222:223], v[144:145], s[16:17], v[226:227]
	v_add_f64 v[174:175], v[222:223], v[174:175]
	v_fma_f64 v[222:223], v[158:159], s[4:5], -v[232:233]
	v_add_f64 v[220:221], v[222:223], v[220:221]
	v_fma_f64 v[222:223], v[156:157], s[4:5], v[234:235]
	v_add_f64 v[174:175], v[222:223], v[174:175]
	v_fma_f64 v[222:223], v[177:178], s[26:27], -v[240:241]
	;; [unrolled: 4-line block ×3, first 2 shown]
	v_add_f64 v[220:221], v[222:223], v[220:221]
	v_fma_f64 v[222:223], v[238:239], s[14:15], v[246:247]
	v_add_f64 v[222:223], v[222:223], v[174:175]
	v_fma_f64 v[174:175], v[146:147], s[16:17], v[224:225]
	v_fma_f64 v[224:225], v[238:239], s[14:15], -v[246:247]
	v_add_f64 v[162:163], v[174:175], v[162:163]
	v_fma_f64 v[174:175], v[144:145], s[16:17], -v[226:227]
	v_add_f64 v[160:161], v[174:175], v[160:161]
	v_fma_f64 v[174:175], v[158:159], s[4:5], v[232:233]
	v_add_f64 v[162:163], v[174:175], v[162:163]
	v_fma_f64 v[174:175], v[156:157], s[4:5], -v[234:235]
	v_add_f64 v[160:161], v[174:175], v[160:161]
	v_fma_f64 v[174:175], v[177:178], s[26:27], v[240:241]
	;; [unrolled: 4-line block ×3, first 2 shown]
	v_add_f64 v[160:161], v[160:161], v[162:163]
	v_add_f64 v[162:163], v[224:225], v[174:175]
	v_fma_f64 v[174:175], v[146:147], s[4:5], -v[154:155]
	v_fma_f64 v[146:147], v[146:147], s[4:5], v[154:155]
	v_add_f64 v[150:151], v[174:175], v[150:151]
	v_fma_f64 v[174:175], v[144:145], s[4:5], v[152:153]
	v_fma_f64 v[144:145], v[144:145], s[4:5], -v[152:153]
	v_add_f64 v[140:141], v[146:147], v[140:141]
	v_fma_f64 v[146:147], v[156:157], s[18:19], -v[168:169]
	s_movk_i32 s4, 0x3000
	v_add_co_u32_e32 v136, vcc, s4, v179
	v_addc_co_u32_e32 v137, vcc, 0, v212, vcc
	v_add_f64 v[148:149], v[174:175], v[148:149]
	v_fma_f64 v[174:175], v[158:159], s[18:19], -v[170:171]
	v_add_f64 v[142:143], v[144:145], v[142:143]
	v_fma_f64 v[144:145], v[158:159], s[18:19], v[170:171]
	v_add_f64 v[150:151], v[174:175], v[150:151]
	v_fma_f64 v[174:175], v[156:157], s[18:19], v[168:169]
	v_add_f64 v[140:141], v[144:145], v[140:141]
	v_add_f64 v[142:143], v[146:147], v[142:143]
	;; [unrolled: 1-line block ×3, first 2 shown]
	v_mul_f64 v[174:175], v[230:231], s[38:39]
	v_mul_f64 v[230:231], v[252:253], s[20:21]
	v_fma_f64 v[224:225], v[177:178], s[14:15], -v[174:175]
	v_fma_f64 v[144:145], v[177:178], s[14:15], v[174:175]
	v_add_co_u32_e32 v174, vcc, s2, v179
	v_addc_co_u32_e32 v175, vcc, 0, v212, vcc
	s_movk_i32 s2, 0x3c80
	v_add_f64 v[150:151], v[224:225], v[150:151]
	v_mul_f64 v[224:225], v[236:237], s[38:39]
	v_add_f64 v[140:141], v[144:145], v[140:141]
	v_fma_f64 v[144:145], v[250:251], s[16:17], v[228:229]
	v_fma_f64 v[226:227], v[172:173], s[14:15], v[224:225]
	v_fma_f64 v[146:147], v[172:173], s[14:15], -v[224:225]
	v_add_f64 v[140:141], v[144:145], v[140:141]
	v_add_f64 v[226:227], v[226:227], v[148:149]
	v_fma_f64 v[148:149], v[250:251], s[16:17], -v[228:229]
	v_add_f64 v[142:143], v[146:147], v[142:143]
	v_fma_f64 v[146:147], v[238:239], s[16:17], -v[230:231]
	v_add_f64 v[148:149], v[148:149], v[150:151]
	v_fma_f64 v[150:151], v[238:239], s[16:17], v[230:231]
	v_add_f64 v[142:143], v[146:147], v[142:143]
	v_add_f64 v[150:151], v[150:151], v[226:227]
	ds_write_b128 v182, v[220:223] offset:5632
	ds_write_b128 v182, v[148:151] offset:7040
	;; [unrolled: 1-line block ×7, first 2 shown]
	s_waitcnt lgkmcnt(0)
	s_barrier
	global_load_dwordx4 v[138:141], v[136:137], off offset:3200
	global_load_dwordx4 v[142:145], v[174:175], off offset:2752
	v_add_co_u32_e32 v136, vcc, s2, v179
	v_addc_co_u32_e32 v137, vcc, 0, v212, vcc
	global_load_dwordx4 v[146:149], v[136:137], off offset:1408
	ds_read_b128 v[150:153], v182
	ds_read_b128 v[204:207], v182 offset:5632
	ds_read_b128 v[208:211], v182 offset:13376
	s_movk_i32 s2, 0x6000
	v_add_co_u32_e32 v170, vcc, s2, v179
	v_addc_co_u32_e32 v171, vcc, 0, v212, vcc
	s_movk_i32 s2, 0x4000
	s_waitcnt vmcnt(2) lgkmcnt(2)
	v_mul_f64 v[154:155], v[152:153], v[140:141]
	v_mul_f64 v[140:141], v[150:151], v[140:141]
	v_fma_f64 v[150:151], v[150:151], v[138:139], -v[154:155]
	v_fma_f64 v[152:153], v[152:153], v[138:139], v[140:141]
	ds_read_b128 v[138:141], v182 offset:7744
	s_waitcnt vmcnt(1) lgkmcnt(0)
	v_mul_f64 v[154:155], v[140:141], v[144:145]
	v_mul_f64 v[144:145], v[138:139], v[144:145]
	v_fma_f64 v[138:139], v[138:139], v[142:143], -v[154:155]
	v_fma_f64 v[140:141], v[140:141], v[142:143], v[144:145]
	ds_read_b128 v[142:145], v182 offset:1408
	s_waitcnt vmcnt(0) lgkmcnt(0)
	v_mul_f64 v[154:155], v[144:145], v[148:149]
	v_mul_f64 v[148:149], v[142:143], v[148:149]
	v_fma_f64 v[142:143], v[142:143], v[146:147], -v[154:155]
	v_fma_f64 v[144:145], v[144:145], v[146:147], v[148:149]
	global_load_dwordx4 v[146:149], v[170:171], off offset:64
	ds_read_b128 v[154:157], v182 offset:9152
	s_waitcnt vmcnt(0) lgkmcnt(0)
	v_mul_f64 v[158:159], v[156:157], v[148:149]
	v_mul_f64 v[148:149], v[154:155], v[148:149]
	v_fma_f64 v[154:155], v[154:155], v[146:147], -v[158:159]
	v_fma_f64 v[156:157], v[156:157], v[146:147], v[148:149]
	global_load_dwordx4 v[146:149], v[136:137], off offset:2816
	;; [unrolled: 7-line block ×3, first 2 shown]
	ds_read_b128 v[162:165], v182 offset:10560
	s_waitcnt vmcnt(0) lgkmcnt(0)
	v_mul_f64 v[166:167], v[164:165], v[148:149]
	v_mul_f64 v[148:149], v[162:163], v[148:149]
	v_fma_f64 v[162:163], v[162:163], v[146:147], -v[166:167]
	v_fma_f64 v[164:165], v[164:165], v[146:147], v[148:149]
	v_add_co_u32_e32 v146, vcc, s2, v179
	v_addc_co_u32_e32 v147, vcc, 0, v212, vcc
	global_load_dwordx4 v[146:149], v[146:147], off offset:3328
	ds_read_b128 v[166:169], v182 offset:4224
	s_movk_i32 s2, 0x7000
	s_waitcnt vmcnt(0) lgkmcnt(0)
	v_mul_f64 v[172:173], v[168:169], v[148:149]
	v_mul_f64 v[148:149], v[166:167], v[148:149]
	v_fma_f64 v[166:167], v[166:167], v[146:147], -v[172:173]
	v_fma_f64 v[168:169], v[168:169], v[146:147], v[148:149]
	global_load_dwordx4 v[146:149], v[170:171], off offset:2880
	ds_read_b128 v[170:173], v182 offset:11968
	s_waitcnt vmcnt(0) lgkmcnt(0)
	v_mul_f64 v[177:178], v[172:173], v[148:149]
	v_mul_f64 v[148:149], v[170:171], v[148:149]
	v_fma_f64 v[170:171], v[170:171], v[146:147], -v[177:178]
	v_fma_f64 v[172:173], v[172:173], v[146:147], v[148:149]
	global_load_dwordx4 v[146:149], v[174:175], off offset:640
	s_waitcnt vmcnt(0)
	v_mul_f64 v[174:175], v[206:207], v[148:149]
	v_mul_f64 v[148:149], v[204:205], v[148:149]
	v_fma_f64 v[204:205], v[204:205], v[146:147], -v[174:175]
	v_fma_f64 v[206:207], v[206:207], v[146:147], v[148:149]
	v_add_co_u32_e32 v146, vcc, s2, v179
	v_addc_co_u32_e32 v147, vcc, 0, v212, vcc
	global_load_dwordx4 v[146:149], v[146:147], off offset:192
	s_waitcnt vmcnt(0)
	v_mul_f64 v[174:175], v[210:211], v[148:149]
	v_mul_f64 v[148:149], v[208:209], v[148:149]
	v_fma_f64 v[208:209], v[208:209], v[146:147], -v[174:175]
	v_fma_f64 v[210:211], v[210:211], v[146:147], v[148:149]
	ds_write_b128 v182, v[150:153]
	ds_write_b128 v182, v[138:141] offset:7744
	ds_write_b128 v182, v[142:145] offset:1408
	;; [unrolled: 1-line block ×9, first 2 shown]
	s_and_saveexec_b64 s[2:3], s[0:1]
	s_cbranch_execz .LBB0_17
; %bb.16:
	v_add_co_u32_e32 v138, vcc, 0x1000, v136
	v_addc_co_u32_e32 v139, vcc, 0, v137, vcc
	v_add_co_u32_e32 v136, vcc, s4, v136
	global_load_dwordx4 v[138:141], v[138:139], off offset:2944
	v_addc_co_u32_e32 v137, vcc, 0, v137, vcc
	global_load_dwordx4 v[142:145], v[136:137], off offset:2496
	ds_read_b128 v[146:149], v182 offset:7040
	ds_read_b128 v[150:153], v182 offset:14784
	s_waitcnt vmcnt(1) lgkmcnt(1)
	v_mul_f64 v[136:137], v[148:149], v[140:141]
	v_mul_f64 v[140:141], v[146:147], v[140:141]
	s_waitcnt vmcnt(0) lgkmcnt(0)
	v_mul_f64 v[154:155], v[152:153], v[144:145]
	v_mul_f64 v[144:145], v[150:151], v[144:145]
	v_fma_f64 v[136:137], v[146:147], v[138:139], -v[136:137]
	v_fma_f64 v[138:139], v[148:149], v[138:139], v[140:141]
	v_fma_f64 v[140:141], v[150:151], v[142:143], -v[154:155]
	v_fma_f64 v[142:143], v[152:153], v[142:143], v[144:145]
	ds_write_b128 v182, v[136:139] offset:7040
	ds_write_b128 v182, v[140:143] offset:14784
.LBB0_17:
	s_or_b64 exec, exec, s[2:3]
	s_waitcnt lgkmcnt(0)
	s_barrier
	ds_read_b128 v[156:159], v182
	ds_read_b128 v[160:163], v182 offset:1408
	ds_read_b128 v[168:171], v182 offset:9152
	;; [unrolled: 1-line block ×9, first 2 shown]
	s_and_saveexec_b64 s[2:3], s[0:1]
	s_cbranch_execz .LBB0_19
; %bb.18:
	ds_read_b128 v[132:135], v182 offset:7040
	ds_read_b128 v[88:91], v182 offset:14784
.LBB0_19:
	s_or_b64 exec, exec, s[2:3]
	s_waitcnt lgkmcnt(3)
	v_add_f64 v[172:173], v[156:157], -v[172:173]
	v_add_f64 v[174:175], v[158:159], -v[174:175]
	s_waitcnt lgkmcnt(0)
	v_add_f64 v[88:89], v[132:133], -v[88:89]
	v_add_f64 v[90:91], v[134:135], -v[90:91]
	;; [unrolled: 1-line block ×8, first 2 shown]
	v_fma_f64 v[156:157], v[156:157], 2.0, -v[172:173]
	v_fma_f64 v[158:159], v[158:159], 2.0, -v[174:175]
	v_add_f64 v[148:149], v[144:145], -v[148:149]
	v_add_f64 v[150:151], v[146:147], -v[150:151]
	v_fma_f64 v[132:133], v[132:133], 2.0, -v[88:89]
	v_fma_f64 v[134:135], v[134:135], 2.0, -v[90:91]
	;; [unrolled: 1-line block ×10, first 2 shown]
	s_barrier
	ds_write_b128 v188, v[156:159]
	ds_write_b128 v188, v[172:175] offset:16
	ds_write_b128 v189, v[160:163]
	ds_write_b128 v189, v[168:171] offset:16
	;; [unrolled: 2-line block ×5, first 2 shown]
	s_and_saveexec_b64 s[2:3], s[0:1]
	s_cbranch_execz .LBB0_21
; %bb.20:
	ds_write_b128 v187, v[132:135]
	ds_write_b128 v187, v[88:91] offset:16
.LBB0_21:
	s_or_b64 exec, exec, s[2:3]
	s_waitcnt lgkmcnt(0)
	s_barrier
	ds_read_b128 v[152:155], v182
	ds_read_b128 v[148:151], v182 offset:1408
	ds_read_b128 v[160:163], v182 offset:9152
	;; [unrolled: 1-line block ×9, first 2 shown]
	s_and_saveexec_b64 s[2:3], s[0:1]
	s_cbranch_execz .LBB0_23
; %bb.22:
	ds_read_b128 v[132:135], v182 offset:7040
	ds_read_b128 v[88:91], v182 offset:14784
.LBB0_23:
	s_or_b64 exec, exec, s[2:3]
	s_waitcnt lgkmcnt(3)
	v_mul_f64 v[177:178], v[42:43], v[174:175]
	v_mul_f64 v[187:188], v[42:43], v[172:173]
	;; [unrolled: 1-line block ×6, first 2 shown]
	s_waitcnt lgkmcnt(1)
	v_mul_f64 v[208:209], v[42:43], v[170:171]
	v_mul_f64 v[210:211], v[42:43], v[168:169]
	v_fma_f64 v[172:173], v[40:41], v[172:173], v[177:178]
	v_fma_f64 v[174:175], v[40:41], v[174:175], -v[187:188]
	v_fma_f64 v[177:178], v[40:41], v[160:161], v[189:190]
	v_fma_f64 v[187:188], v[40:41], v[162:163], -v[191:192]
	;; [unrolled: 2-line block ×3, first 2 shown]
	v_fma_f64 v[168:169], v[40:41], v[168:169], v[208:209]
	s_waitcnt lgkmcnt(0)
	v_mul_f64 v[204:205], v[42:43], v[158:159]
	v_mul_f64 v[206:207], v[42:43], v[156:157]
	;; [unrolled: 1-line block ×4, first 2 shown]
	v_fma_f64 v[170:171], v[40:41], v[170:171], -v[210:211]
	v_add_f64 v[160:161], v[152:153], -v[172:173]
	v_add_f64 v[162:163], v[154:155], -v[174:175]
	;; [unrolled: 1-line block ×3, first 2 shown]
	v_fma_f64 v[172:173], v[40:41], v[156:157], v[204:205]
	v_fma_f64 v[174:175], v[40:41], v[158:159], -v[206:207]
	v_fma_f64 v[88:89], v[40:41], v[88:89], v[208:209]
	v_fma_f64 v[40:41], v[40:41], v[90:91], -v[42:43]
	v_add_f64 v[166:167], v[150:151], -v[187:188]
	v_add_f64 v[156:157], v[140:141], -v[189:190]
	v_add_f64 v[158:159], v[142:143], -v[191:192]
	v_add_f64 v[168:169], v[136:137], -v[168:169]
	v_add_f64 v[170:171], v[138:139], -v[170:171]
	v_fma_f64 v[152:153], v[152:153], 2.0, -v[160:161]
	v_add_f64 v[88:89], v[132:133], -v[88:89]
	v_add_f64 v[90:91], v[134:135], -v[40:41]
	v_fma_f64 v[154:155], v[154:155], 2.0, -v[162:163]
	v_add_f64 v[172:173], v[144:145], -v[172:173]
	v_add_f64 v[174:175], v[146:147], -v[174:175]
	v_fma_f64 v[148:149], v[148:149], 2.0, -v[164:165]
	v_fma_f64 v[150:151], v[150:151], 2.0, -v[166:167]
	;; [unrolled: 1-line block ×10, first 2 shown]
	s_barrier
	ds_write_b128 v193, v[152:155]
	ds_write_b128 v193, v[160:163] offset:32
	ds_write_b128 v194, v[148:151]
	ds_write_b128 v194, v[164:167] offset:32
	;; [unrolled: 2-line block ×5, first 2 shown]
	s_and_saveexec_b64 s[2:3], s[0:1]
	s_cbranch_execz .LBB0_25
; %bb.24:
	s_movk_i32 s4, 0x3fc
	v_and_or_b32 v132, v184, s4, v185
	v_lshl_add_u32 v132, v132, 4, v183
	ds_write_b128 v132, v[40:43]
	ds_write_b128 v132, v[88:91] offset:32
.LBB0_25:
	s_or_b64 exec, exec, s[2:3]
	s_waitcnt lgkmcnt(0)
	s_barrier
	ds_read_b128 v[148:151], v182
	ds_read_b128 v[136:139], v182 offset:1408
	ds_read_b128 v[164:167], v182 offset:9152
	;; [unrolled: 1-line block ×9, first 2 shown]
	s_and_saveexec_b64 s[2:3], s[0:1]
	s_cbranch_execz .LBB0_27
; %bb.26:
	ds_read_b128 v[40:43], v182 offset:7040
	ds_read_b128 v[88:91], v182 offset:14784
.LBB0_27:
	s_or_b64 exec, exec, s[2:3]
	s_waitcnt lgkmcnt(3)
	v_mul_f64 v[172:173], v[46:47], v[170:171]
	v_mul_f64 v[174:175], v[46:47], v[168:169]
	v_mul_f64 v[177:178], v[46:47], v[166:167]
	v_mul_f64 v[187:188], v[46:47], v[164:165]
	v_mul_f64 v[189:190], v[46:47], v[154:155]
	v_mul_f64 v[191:192], v[46:47], v[152:153]
	s_waitcnt lgkmcnt(1)
	v_mul_f64 v[193:194], v[46:47], v[162:163]
	s_waitcnt lgkmcnt(0)
	v_mul_f64 v[195:196], v[46:47], v[156:157]
	v_fma_f64 v[168:169], v[44:45], v[168:169], v[172:173]
	v_mul_f64 v[172:173], v[46:47], v[160:161]
	v_fma_f64 v[170:171], v[44:45], v[170:171], -v[174:175]
	v_mul_f64 v[174:175], v[46:47], v[158:159]
	v_fma_f64 v[177:178], v[44:45], v[164:165], v[177:178]
	v_fma_f64 v[187:188], v[44:45], v[166:167], -v[187:188]
	v_fma_f64 v[189:190], v[44:45], v[152:153], v[189:190]
	v_fma_f64 v[160:161], v[44:45], v[160:161], v[193:194]
	v_add_f64 v[164:165], v[148:149], -v[168:169]
	v_fma_f64 v[168:169], v[44:45], v[154:155], -v[191:192]
	v_fma_f64 v[162:163], v[44:45], v[162:163], -v[172:173]
	v_add_f64 v[166:167], v[150:151], -v[170:171]
	v_fma_f64 v[170:171], v[44:45], v[156:157], v[174:175]
	v_fma_f64 v[172:173], v[44:45], v[158:159], -v[195:196]
	v_add_f64 v[152:153], v[136:137], -v[177:178]
	v_add_f64 v[154:155], v[138:139], -v[187:188]
	;; [unrolled: 1-line block ×6, first 2 shown]
	v_fma_f64 v[148:149], v[148:149], 2.0, -v[164:165]
	v_fma_f64 v[150:151], v[150:151], 2.0, -v[166:167]
	v_add_f64 v[168:169], v[132:133], -v[170:171]
	v_add_f64 v[170:171], v[134:135], -v[172:173]
	v_fma_f64 v[136:137], v[136:137], 2.0, -v[152:153]
	v_fma_f64 v[138:139], v[138:139], 2.0, -v[154:155]
	;; [unrolled: 1-line block ×8, first 2 shown]
	s_barrier
	ds_write_b128 v198, v[148:151]
	ds_write_b128 v198, v[164:167] offset:64
	ds_write_b128 v199, v[136:139]
	ds_write_b128 v199, v[152:155] offset:64
	;; [unrolled: 2-line block ×5, first 2 shown]
	s_and_saveexec_b64 s[2:3], s[0:1]
	s_cbranch_execz .LBB0_29
; %bb.28:
	v_mul_f64 v[132:133], v[46:47], v[88:89]
	v_mul_f64 v[46:47], v[46:47], v[90:91]
	s_movk_i32 s4, 0x3f8
	v_fma_f64 v[90:91], v[44:45], v[90:91], -v[132:133]
	v_fma_f64 v[44:45], v[44:45], v[88:89], v[46:47]
	v_and_or_b32 v88, v184, s4, v186
	v_lshl_add_u32 v88, v88, 4, v183
	v_add_f64 v[46:47], v[42:43], -v[90:91]
	v_add_f64 v[44:45], v[40:41], -v[44:45]
	v_fma_f64 v[42:43], v[42:43], 2.0, -v[46:47]
	v_fma_f64 v[40:41], v[40:41], 2.0, -v[44:45]
	ds_write_b128 v88, v[40:43]
	ds_write_b128 v88, v[44:47] offset:64
.LBB0_29:
	s_or_b64 exec, exec, s[2:3]
	s_waitcnt lgkmcnt(0)
	s_barrier
	ds_read_b128 v[40:43], v182 offset:1408
	ds_read_b128 v[44:47], v182 offset:2816
	s_mov_b32 s14, 0xf8bb580b
	s_mov_b32 s2, 0x8eee2c13
	;; [unrolled: 1-line block ×3, first 2 shown]
	s_waitcnt lgkmcnt(1)
	v_mul_f64 v[90:91], v[86:87], v[42:43]
	v_mul_f64 v[132:133], v[86:87], v[40:41]
	ds_read_b128 v[86:89], v182 offset:4224
	s_mov_b32 s26, 0xbb3a28a1
	s_mov_b32 s34, 0xfd768dbf
	;; [unrolled: 1-line block ×5, first 2 shown]
	v_fma_f64 v[90:91], v[84:85], v[40:41], v[90:91]
	v_fma_f64 v[138:139], v[84:85], v[42:43], -v[132:133]
	ds_read_b128 v[40:43], v182 offset:5632
	ds_read_b128 v[132:135], v182
	s_waitcnt lgkmcnt(3)
	v_mul_f64 v[136:137], v[78:79], v[46:47]
	v_mul_f64 v[78:79], v[78:79], v[44:45]
	s_waitcnt lgkmcnt(2)
	v_mul_f64 v[84:85], v[62:63], v[88:89]
	v_mul_f64 v[62:63], v[62:63], v[86:87]
	s_waitcnt lgkmcnt(1)
	v_mul_f64 v[142:143], v[54:55], v[42:43]
	v_mul_f64 v[54:55], v[54:55], v[40:41]
	s_mov_b32 s27, 0xbfe82f19
	s_mov_b32 s35, 0xbfd207e7
	v_fma_f64 v[136:137], v[76:77], v[44:45], v[136:137]
	v_fma_f64 v[140:141], v[76:77], v[46:47], -v[78:79]
	s_waitcnt lgkmcnt(0)
	v_add_f64 v[76:77], v[132:133], v[90:91]
	v_add_f64 v[78:79], v[134:135], v[138:139]
	v_fma_f64 v[86:87], v[60:61], v[86:87], v[84:85]
	v_fma_f64 v[88:89], v[60:61], v[88:89], -v[62:63]
	ds_read_b128 v[44:47], v182 offset:7040
	v_fma_f64 v[142:143], v[52:53], v[40:41], v[142:143]
	v_fma_f64 v[150:151], v[52:53], v[42:43], -v[54:55]
	s_mov_b32 s12, 0x8764f0ba
	v_add_f64 v[84:85], v[76:77], v[136:137]
	v_add_f64 v[144:145], v[78:79], v[140:141]
	s_waitcnt lgkmcnt(0)
	v_mul_f64 v[146:147], v[82:83], v[46:47]
	v_mul_f64 v[148:149], v[82:83], v[44:45]
	ds_read_b128 v[60:63], v182 offset:8448
	ds_read_b128 v[76:79], v182 offset:9856
	s_mov_b32 s4, 0xd9c712b6
	s_mov_b32 s22, 0x640f44db
	;; [unrolled: 1-line block ×3, first 2 shown]
	v_add_f64 v[152:153], v[84:85], v[86:87]
	v_add_f64 v[144:145], v[144:145], v[88:89]
	s_waitcnt lgkmcnt(1)
	v_mul_f64 v[154:155], v[66:67], v[62:63]
	v_mul_f64 v[66:67], v[66:67], v[60:61]
	v_fma_f64 v[44:45], v[80:81], v[44:45], v[146:147]
	v_fma_f64 v[46:47], v[80:81], v[46:47], -v[148:149]
	ds_read_b128 v[40:43], v182 offset:11264
	ds_read_b128 v[52:55], v182 offset:12672
	;; [unrolled: 1-line block ×3, first 2 shown]
	s_waitcnt lgkmcnt(3)
	v_mul_f64 v[146:147], v[58:59], v[78:79]
	v_add_f64 v[80:81], v[152:153], v[142:143]
	v_add_f64 v[144:145], v[144:145], v[150:151]
	v_mul_f64 v[58:59], v[58:59], v[76:77]
	v_fma_f64 v[60:61], v[64:65], v[60:61], v[154:155]
	v_fma_f64 v[62:63], v[64:65], v[62:63], -v[66:67]
	s_mov_b32 s36, 0x9bcd5057
	s_mov_b32 s13, 0x3feaeb8c
	v_fma_f64 v[76:77], v[56:57], v[76:77], v[146:147]
	v_add_f64 v[64:65], v[80:81], v[44:45]
	v_add_f64 v[66:67], v[144:145], v[46:47]
	s_waitcnt lgkmcnt(0)
	v_mul_f64 v[80:81], v[74:75], v[82:83]
	v_mul_f64 v[144:145], v[50:51], v[42:43]
	;; [unrolled: 1-line block ×3, first 2 shown]
	v_fma_f64 v[56:57], v[56:57], v[78:79], -v[58:59]
	v_mul_f64 v[78:79], v[70:71], v[54:55]
	v_mul_f64 v[70:71], v[70:71], v[52:53]
	v_add_f64 v[58:59], v[64:65], v[60:61]
	v_add_f64 v[64:65], v[66:67], v[62:63]
	v_mul_f64 v[66:67], v[74:75], v[84:85]
	v_fma_f64 v[74:75], v[72:73], v[84:85], -v[80:81]
	v_fma_f64 v[80:81], v[48:49], v[40:41], v[144:145]
	v_fma_f64 v[48:49], v[48:49], v[42:43], -v[50:51]
	v_fma_f64 v[52:53], v[68:69], v[52:53], v[78:79]
	v_fma_f64 v[54:55], v[68:69], v[54:55], -v[70:71]
	v_add_f64 v[40:41], v[58:59], v[76:77]
	v_add_f64 v[42:43], v[64:65], v[56:57]
	v_fma_f64 v[50:51], v[72:73], v[82:83], v[66:67]
	v_add_f64 v[58:59], v[138:139], -v[74:75]
	v_add_f64 v[64:65], v[138:139], v[74:75]
	s_mov_b32 s5, 0x3fda9628
	s_mov_b32 s23, 0xbfc2375f
	v_add_f64 v[160:161], v[140:141], -v[54:55]
	v_add_f64 v[40:41], v[40:41], v[80:81]
	v_add_f64 v[42:43], v[42:43], v[48:49]
	;; [unrolled: 1-line block ×3, first 2 shown]
	v_mul_f64 v[68:69], v[58:59], s[14:15]
	v_mul_f64 v[82:83], v[58:59], s[2:3]
	;; [unrolled: 1-line block ×5, first 2 shown]
	s_mov_b32 s29, 0xbfe4f49e
	s_mov_b32 s37, 0xbfeeb42a
	v_add_f64 v[70:71], v[90:91], -v[50:51]
	v_mul_f64 v[72:73], v[64:65], s[12:13]
	v_add_f64 v[40:41], v[40:41], v[52:53]
	v_add_f64 v[42:43], v[42:43], v[54:55]
	v_fma_f64 v[78:79], v[66:67], s[12:13], v[68:69]
	v_mul_f64 v[84:85], v[64:65], s[4:5]
	v_mul_f64 v[146:147], v[64:65], s[22:23]
	;; [unrolled: 1-line block ×4, first 2 shown]
	v_add_f64 v[54:55], v[140:141], v[54:55]
	v_fma_f64 v[140:141], v[66:67], s[36:37], v[58:59]
	v_add_f64 v[164:165], v[136:137], v[52:53]
	v_add_f64 v[52:53], v[136:137], -v[52:53]
	v_mul_f64 v[136:137], v[160:161], s[2:3]
	s_mov_b32 s21, 0x3fe14ced
	s_mov_b32 s20, s14
	;; [unrolled: 1-line block ×10, first 2 shown]
	v_fma_f64 v[90:91], v[70:71], s[20:21], v[72:73]
	v_add_f64 v[40:41], v[40:41], v[50:51]
	v_add_f64 v[42:43], v[42:43], v[74:75]
	v_fma_f64 v[50:51], v[66:67], s[12:13], -v[68:69]
	v_add_f64 v[68:69], v[132:133], v[78:79]
	v_fma_f64 v[72:73], v[70:71], s[14:15], v[72:73]
	v_fma_f64 v[74:75], v[66:67], s[4:5], v[82:83]
	v_fma_f64 v[78:79], v[70:71], s[16:17], v[84:85]
	v_fma_f64 v[82:83], v[66:67], s[4:5], -v[82:83]
	v_fma_f64 v[84:85], v[70:71], s[2:3], v[84:85]
	v_fma_f64 v[144:145], v[66:67], s[22:23], v[138:139]
	v_fma_f64 v[154:155], v[70:71], s[24:25], v[146:147]
	v_fma_f64 v[138:139], v[66:67], s[22:23], -v[138:139]
	;; [unrolled: 4-line block ×3, first 2 shown]
	v_fma_f64 v[152:153], v[70:71], s[26:27], v[152:153]
	v_fma_f64 v[162:163], v[70:71], s[38:39], v[64:65]
	v_mul_f64 v[166:167], v[54:55], s[4:5]
	v_fma_f64 v[58:59], v[66:67], s[36:37], -v[58:59]
	v_fma_f64 v[64:65], v[70:71], s[34:35], v[64:65]
	v_add_f64 v[66:67], v[132:133], v[140:141]
	v_mul_f64 v[140:141], v[160:161], s[26:27]
	v_fma_f64 v[168:169], v[164:165], s[4:5], v[136:137]
	v_add_f64 v[90:91], v[134:135], v[90:91]
	v_add_f64 v[50:51], v[132:133], v[50:51]
	;; [unrolled: 1-line block ×16, first 2 shown]
	v_mul_f64 v[162:163], v[54:55], s[28:29]
	v_fma_f64 v[170:171], v[52:53], s[16:17], v[166:167]
	v_add_f64 v[58:59], v[132:133], v[58:59]
	v_add_f64 v[64:65], v[134:135], v[64:65]
	v_fma_f64 v[132:133], v[164:165], s[4:5], -v[136:137]
	v_fma_f64 v[134:135], v[52:53], s[2:3], v[166:167]
	v_fma_f64 v[136:137], v[164:165], s[28:29], v[140:141]
	v_add_f64 v[68:69], v[168:169], v[68:69]
	v_mul_f64 v[168:169], v[160:161], s[38:39]
	v_fma_f64 v[166:167], v[52:53], s[30:31], v[162:163]
	v_add_f64 v[90:91], v[170:171], v[90:91]
	v_mul_f64 v[170:171], v[54:55], s[36:37]
	v_add_f64 v[50:51], v[132:133], v[50:51]
	v_add_f64 v[72:73], v[134:135], v[72:73]
	;; [unrolled: 1-line block ×3, first 2 shown]
	v_fma_f64 v[132:133], v[164:165], s[28:29], -v[140:141]
	v_fma_f64 v[134:135], v[52:53], s[26:27], v[162:163]
	v_fma_f64 v[136:137], v[164:165], s[36:37], v[168:169]
	v_mul_f64 v[162:163], v[160:161], s[24:25]
	v_add_f64 v[78:79], v[166:167], v[78:79]
	v_fma_f64 v[140:141], v[52:53], s[34:35], v[170:171]
	v_mul_f64 v[166:167], v[54:55], s[22:23]
	v_fma_f64 v[170:171], v[52:53], s[38:39], v[170:171]
	v_add_f64 v[82:83], v[132:133], v[82:83]
	v_add_f64 v[84:85], v[134:135], v[84:85]
	;; [unrolled: 1-line block ×3, first 2 shown]
	v_fma_f64 v[136:137], v[164:165], s[22:23], v[162:163]
	v_mul_f64 v[160:161], v[160:161], s[20:21]
	v_add_f64 v[134:135], v[140:141], v[154:155]
	v_fma_f64 v[154:155], v[52:53], s[24:25], v[166:167]
	v_add_f64 v[144:145], v[170:171], v[146:147]
	v_fma_f64 v[146:147], v[164:165], s[22:23], -v[162:163]
	v_mul_f64 v[54:55], v[54:55], s[12:13]
	v_fma_f64 v[140:141], v[52:53], s[18:19], v[166:167]
	v_add_f64 v[136:137], v[136:137], v[156:157]
	v_add_f64 v[156:157], v[88:89], -v[48:49]
	v_add_f64 v[48:49], v[88:89], v[48:49]
	v_fma_f64 v[168:169], v[164:165], s[36:37], -v[168:169]
	v_add_f64 v[88:89], v[146:147], v[148:149]
	v_add_f64 v[146:147], v[154:155], v[152:153]
	v_fma_f64 v[148:149], v[164:165], s[12:13], v[160:161]
	v_fma_f64 v[152:153], v[52:53], s[14:15], v[54:55]
	v_add_f64 v[154:155], v[86:87], v[80:81]
	v_add_f64 v[80:81], v[86:87], -v[80:81]
	v_mul_f64 v[86:87], v[156:157], s[18:19]
	v_add_f64 v[140:141], v[140:141], v[158:159]
	v_mul_f64 v[158:159], v[48:49], s[22:23]
	v_fma_f64 v[52:53], v[52:53], s[20:21], v[54:55]
	v_add_f64 v[54:55], v[148:149], v[66:67]
	v_add_f64 v[66:67], v[152:153], v[70:71]
	v_mul_f64 v[70:71], v[156:157], s[38:39]
	v_fma_f64 v[160:161], v[164:165], s[12:13], -v[160:161]
	v_fma_f64 v[152:153], v[154:155], s[22:23], v[86:87]
	v_mul_f64 v[148:149], v[48:49], s[36:37]
	v_fma_f64 v[162:163], v[80:81], s[24:25], v[158:159]
	v_add_f64 v[52:53], v[52:53], v[64:65]
	v_fma_f64 v[64:65], v[154:155], s[22:23], -v[86:87]
	v_fma_f64 v[86:87], v[80:81], s[18:19], v[158:159]
	v_fma_f64 v[158:159], v[154:155], s[36:37], v[70:71]
	v_add_f64 v[58:59], v[160:161], v[58:59]
	v_add_f64 v[68:69], v[152:153], v[68:69]
	v_mul_f64 v[152:153], v[156:157], s[16:17]
	v_fma_f64 v[160:161], v[80:81], s[34:35], v[148:149]
	v_add_f64 v[90:91], v[162:163], v[90:91]
	v_mul_f64 v[162:163], v[48:49], s[4:5]
	v_add_f64 v[50:51], v[64:65], v[50:51]
	v_add_f64 v[64:65], v[86:87], v[72:73]
	;; [unrolled: 1-line block ×3, first 2 shown]
	v_fma_f64 v[70:71], v[154:155], s[36:37], -v[70:71]
	v_fma_f64 v[86:87], v[154:155], s[4:5], v[152:153]
	v_mul_f64 v[158:159], v[156:157], s[14:15]
	v_add_f64 v[74:75], v[160:161], v[78:79]
	v_fma_f64 v[78:79], v[80:81], s[38:39], v[148:149]
	v_fma_f64 v[148:149], v[80:81], s[2:3], v[162:163]
	v_add_f64 v[138:139], v[168:169], v[138:139]
	v_mul_f64 v[160:161], v[48:49], s[12:13]
	v_add_f64 v[70:71], v[70:71], v[82:83]
	v_add_f64 v[82:83], v[86:87], v[132:133]
	v_fma_f64 v[86:87], v[154:155], s[12:13], v[158:159]
	v_fma_f64 v[152:153], v[154:155], s[4:5], -v[152:153]
	v_fma_f64 v[162:163], v[80:81], s[16:17], v[162:163]
	v_add_f64 v[78:79], v[78:79], v[84:85]
	v_add_f64 v[84:85], v[148:149], v[134:135]
	v_mul_f64 v[48:49], v[48:49], s[28:29]
	v_fma_f64 v[148:149], v[154:155], s[12:13], -v[158:159]
	v_fma_f64 v[132:133], v[80:81], s[20:21], v[160:161]
	v_add_f64 v[86:87], v[86:87], v[136:137]
	v_add_f64 v[136:137], v[150:151], -v[56:57]
	v_add_f64 v[134:135], v[152:153], v[138:139]
	v_add_f64 v[138:139], v[162:163], v[144:145]
	v_mul_f64 v[144:145], v[156:157], s[26:27]
	v_fma_f64 v[152:153], v[80:81], s[14:15], v[160:161]
	v_add_f64 v[56:57], v[150:151], v[56:57]
	v_fma_f64 v[150:151], v[80:81], s[30:31], v[48:49]
	v_add_f64 v[88:89], v[148:149], v[88:89]
	v_add_f64 v[148:149], v[142:143], v[76:77]
	v_add_f64 v[76:77], v[142:143], -v[76:77]
	v_mul_f64 v[142:143], v[136:137], s[26:27]
	v_add_f64 v[132:133], v[132:133], v[140:141]
	v_fma_f64 v[140:141], v[154:155], s[28:29], v[144:145]
	v_add_f64 v[146:147], v[152:153], v[146:147]
	v_mul_f64 v[152:153], v[56:57], s[28:29]
	v_add_f64 v[66:67], v[150:151], v[66:67]
	v_fma_f64 v[48:49], v[80:81], s[26:27], v[48:49]
	v_mul_f64 v[80:81], v[136:137], s[24:25]
	v_fma_f64 v[150:151], v[148:149], s[28:29], v[142:143]
	v_fma_f64 v[142:143], v[148:149], s[28:29], -v[142:143]
	v_add_f64 v[54:55], v[140:141], v[54:55]
	v_fma_f64 v[140:141], v[154:155], s[28:29], -v[144:145]
	v_mul_f64 v[144:145], v[56:57], s[22:23]
	v_fma_f64 v[154:155], v[76:77], s[30:31], v[152:153]
	v_fma_f64 v[152:153], v[76:77], s[26:27], v[152:153]
	v_add_f64 v[48:49], v[48:49], v[52:53]
	v_add_f64 v[68:69], v[150:151], v[68:69]
	;; [unrolled: 1-line block ×3, first 2 shown]
	v_mul_f64 v[142:143], v[136:137], s[14:15]
	v_mul_f64 v[150:151], v[56:57], s[12:13]
	v_add_f64 v[58:59], v[140:141], v[58:59]
	v_fma_f64 v[52:53], v[148:149], s[22:23], v[80:81]
	v_fma_f64 v[140:141], v[76:77], s[18:19], v[144:145]
	v_add_f64 v[90:91], v[154:155], v[90:91]
	v_add_f64 v[64:65], v[152:153], v[64:65]
	v_fma_f64 v[80:81], v[148:149], s[22:23], -v[80:81]
	v_fma_f64 v[152:153], v[148:149], s[12:13], v[142:143]
	v_fma_f64 v[154:155], v[76:77], s[20:21], v[150:151]
	v_fma_f64 v[142:143], v[148:149], s[12:13], -v[142:143]
	v_fma_f64 v[150:151], v[76:77], s[14:15], v[150:151]
	v_add_f64 v[52:53], v[52:53], v[72:73]
	v_add_f64 v[72:73], v[140:141], v[74:75]
	v_mul_f64 v[74:75], v[136:137], s[34:35]
	v_mul_f64 v[140:141], v[56:57], s[36:37]
	v_fma_f64 v[144:145], v[76:77], s[24:25], v[144:145]
	v_add_f64 v[70:71], v[80:81], v[70:71]
	v_add_f64 v[80:81], v[152:153], v[82:83]
	;; [unrolled: 1-line block ×5, first 2 shown]
	v_add_f64 v[138:139], v[46:47], -v[62:63]
	v_add_f64 v[142:143], v[46:47], v[62:63]
	v_mul_f64 v[46:47], v[136:137], s[16:17]
	v_mul_f64 v[56:57], v[56:57], s[4:5]
	v_fma_f64 v[156:157], v[148:149], s[36:37], v[74:75]
	v_fma_f64 v[158:159], v[76:77], s[38:39], v[140:141]
	v_add_f64 v[78:79], v[144:145], v[78:79]
	v_fma_f64 v[62:63], v[148:149], s[36:37], -v[74:75]
	v_fma_f64 v[74:75], v[76:77], s[34:35], v[140:141]
	v_add_f64 v[136:137], v[44:45], v[60:61]
	v_add_f64 v[140:141], v[44:45], -v[60:61]
	v_mul_f64 v[60:61], v[138:139], s[34:35]
	v_mul_f64 v[144:145], v[142:143], s[36:37]
	v_fma_f64 v[44:45], v[148:149], s[4:5], v[46:47]
	v_fma_f64 v[150:151], v[76:77], s[2:3], v[56:57]
	v_add_f64 v[88:89], v[62:63], v[88:89]
	v_add_f64 v[74:75], v[74:75], v[146:147]
	v_fma_f64 v[46:47], v[148:149], s[4:5], -v[46:47]
	v_fma_f64 v[56:57], v[76:77], s[16:17], v[56:57]
	v_fma_f64 v[62:63], v[136:137], s[36:37], v[60:61]
	;; [unrolled: 1-line block ×3, first 2 shown]
	v_add_f64 v[146:147], v[44:45], v[54:55]
	v_add_f64 v[148:149], v[150:151], v[66:67]
	v_mul_f64 v[54:55], v[138:139], s[20:21]
	v_mul_f64 v[66:67], v[142:143], s[12:13]
	v_add_f64 v[150:151], v[46:47], v[58:59]
	v_add_f64 v[152:153], v[56:57], v[48:49]
	;; [unrolled: 1-line block ×4, first 2 shown]
	v_fma_f64 v[48:49], v[136:137], s[36:37], -v[60:61]
	v_fma_f64 v[56:57], v[140:141], s[34:35], v[144:145]
	v_fma_f64 v[58:59], v[136:137], s[12:13], v[54:55]
	;; [unrolled: 1-line block ×3, first 2 shown]
	v_mul_f64 v[62:63], v[138:139], s[26:27]
	v_mul_f64 v[68:69], v[142:143], s[28:29]
	v_fma_f64 v[76:77], v[136:137], s[12:13], -v[54:55]
	v_fma_f64 v[66:67], v[140:141], s[20:21], v[66:67]
	v_add_f64 v[48:49], v[48:49], v[50:51]
	v_add_f64 v[50:51], v[56:57], v[64:65]
	;; [unrolled: 1-line block ×4, first 2 shown]
	v_fma_f64 v[60:61], v[136:137], s[28:29], v[62:63]
	v_fma_f64 v[64:65], v[140:141], s[30:31], v[68:69]
	v_add_f64 v[56:57], v[76:77], v[70:71]
	v_add_f64 v[58:59], v[66:67], v[78:79]
	v_fma_f64 v[66:67], v[136:137], s[28:29], -v[62:63]
	v_fma_f64 v[68:69], v[140:141], s[26:27], v[68:69]
	v_mul_f64 v[70:71], v[138:139], s[16:17]
	v_mul_f64 v[72:73], v[142:143], s[4:5]
	v_mul_f64 v[76:77], v[138:139], s[18:19]
	v_mul_f64 v[78:79], v[142:143], s[22:23]
	v_add_f64 v[86:87], v[156:157], v[86:87]
	v_add_f64 v[132:133], v[158:159], v[132:133]
	v_add_f64 v[60:61], v[60:61], v[80:81]
	v_add_f64 v[62:63], v[64:65], v[82:83]
	v_add_f64 v[64:65], v[66:67], v[84:85]
	v_add_f64 v[66:67], v[68:69], v[134:135]
	v_fma_f64 v[68:69], v[136:137], s[4:5], v[70:71]
	v_fma_f64 v[80:81], v[140:141], s[2:3], v[72:73]
	;; [unrolled: 1-line block ×4, first 2 shown]
	v_fma_f64 v[82:83], v[136:137], s[4:5], -v[70:71]
	v_fma_f64 v[136:137], v[136:137], s[22:23], -v[76:77]
	v_fma_f64 v[138:139], v[140:141], s[18:19], v[78:79]
	v_fma_f64 v[84:85], v[140:141], s[16:17], v[72:73]
	v_add_f64 v[68:69], v[68:69], v[86:87]
	v_add_f64 v[70:71], v[80:81], v[132:133]
	;; [unrolled: 1-line block ×8, first 2 shown]
	s_barrier
	ds_write_b128 v203, v[40:43]
	ds_write_b128 v203, v[44:47] offset:128
	ds_write_b128 v203, v[52:55] offset:256
	;; [unrolled: 1-line block ×10, first 2 shown]
	s_waitcnt lgkmcnt(0)
	s_barrier
	ds_read_b128 v[40:43], v182 offset:1408
	ds_read_b128 v[44:47], v182 offset:2816
	;; [unrolled: 1-line block ×3, first 2 shown]
	s_waitcnt lgkmcnt(2)
	v_mul_f64 v[52:53], v[118:119], v[42:43]
	v_mul_f64 v[54:55], v[118:119], v[40:41]
	s_waitcnt lgkmcnt(1)
	v_mul_f64 v[56:57], v[114:115], v[46:47]
	v_mul_f64 v[58:59], v[114:115], v[44:45]
	v_fma_f64 v[64:65], v[116:117], v[40:41], v[52:53]
	v_fma_f64 v[66:67], v[116:117], v[42:43], -v[54:55]
	ds_read_b128 v[52:55], v182
	v_fma_f64 v[68:69], v[112:113], v[44:45], v[56:57]
	v_fma_f64 v[70:71], v[112:113], v[46:47], -v[58:59]
	s_waitcnt lgkmcnt(1)
	v_mul_f64 v[56:57], v[98:99], v[50:51]
	v_mul_f64 v[58:59], v[98:99], v[48:49]
	ds_read_b128 v[40:43], v182 offset:5632
	ds_read_b128 v[44:47], v182 offset:7040
	s_waitcnt lgkmcnt(2)
	v_add_f64 v[60:61], v[52:53], v[64:65]
	v_add_f64 v[62:63], v[54:55], v[66:67]
	s_waitcnt lgkmcnt(1)
	v_mul_f64 v[72:73], v[94:95], v[42:43]
	v_fma_f64 v[74:75], v[96:97], v[48:49], v[56:57]
	v_fma_f64 v[76:77], v[96:97], v[50:51], -v[58:59]
	v_mul_f64 v[48:49], v[94:95], v[40:41]
	s_waitcnt lgkmcnt(0)
	v_mul_f64 v[58:59], v[122:123], v[46:47]
	v_add_f64 v[50:51], v[60:61], v[68:69]
	v_add_f64 v[56:57], v[62:63], v[70:71]
	v_mul_f64 v[60:61], v[122:123], v[44:45]
	v_fma_f64 v[72:73], v[92:93], v[40:41], v[72:73]
	v_fma_f64 v[78:79], v[92:93], v[42:43], -v[48:49]
	v_fma_f64 v[80:81], v[120:121], v[44:45], v[58:59]
	v_add_f64 v[62:63], v[50:51], v[74:75]
	v_add_f64 v[56:57], v[56:57], v[76:77]
	ds_read_b128 v[40:43], v182 offset:8448
	ds_read_b128 v[48:51], v182 offset:9856
	v_fma_f64 v[82:83], v[120:121], v[46:47], -v[60:61]
	s_waitcnt lgkmcnt(1)
	v_mul_f64 v[84:85], v[110:111], v[42:43]
	v_mul_f64 v[86:87], v[110:111], v[40:41]
	v_add_f64 v[88:89], v[62:63], v[72:73]
	v_add_f64 v[90:91], v[56:57], v[78:79]
	ds_read_b128 v[44:47], v182 offset:11264
	ds_read_b128 v[56:59], v182 offset:12672
	;; [unrolled: 1-line block ×3, first 2 shown]
	s_waitcnt lgkmcnt(3)
	v_mul_f64 v[92:93], v[106:107], v[50:51]
	v_mul_f64 v[94:95], v[106:107], v[48:49]
	v_fma_f64 v[84:85], v[108:109], v[40:41], v[84:85]
	v_fma_f64 v[86:87], v[108:109], v[42:43], -v[86:87]
	v_add_f64 v[40:41], v[88:89], v[80:81]
	v_add_f64 v[42:43], v[90:91], v[82:83]
	s_waitcnt lgkmcnt(2)
	v_mul_f64 v[88:89], v[102:103], v[46:47]
	s_waitcnt lgkmcnt(0)
	v_mul_f64 v[90:91], v[130:131], v[60:61]
	v_fma_f64 v[48:49], v[104:105], v[48:49], v[92:93]
	v_fma_f64 v[50:51], v[104:105], v[50:51], -v[94:95]
	v_mul_f64 v[92:93], v[102:103], v[44:45]
	v_mul_f64 v[94:95], v[130:131], v[62:63]
	v_add_f64 v[40:41], v[40:41], v[84:85]
	v_add_f64 v[42:43], v[42:43], v[86:87]
	v_fma_f64 v[88:89], v[100:101], v[44:45], v[88:89]
	v_mul_f64 v[44:45], v[126:127], v[58:59]
	v_fma_f64 v[62:63], v[128:129], v[62:63], -v[90:91]
	v_mul_f64 v[96:97], v[126:127], v[56:57]
	v_fma_f64 v[46:47], v[100:101], v[46:47], -v[92:93]
	v_add_f64 v[40:41], v[40:41], v[48:49]
	v_add_f64 v[42:43], v[42:43], v[50:51]
	v_fma_f64 v[56:57], v[124:125], v[56:57], v[44:45]
	v_fma_f64 v[44:45], v[128:129], v[60:61], v[94:95]
	v_add_f64 v[60:61], v[66:67], -v[62:63]
	v_add_f64 v[66:67], v[66:67], v[62:63]
	v_fma_f64 v[58:59], v[124:125], v[58:59], -v[96:97]
	v_add_f64 v[40:41], v[40:41], v[88:89]
	v_add_f64 v[42:43], v[42:43], v[46:47]
	;; [unrolled: 1-line block ×4, first 2 shown]
	v_add_f64 v[64:65], v[64:65], -v[44:45]
	v_mul_f64 v[92:93], v[60:61], s[14:15]
	v_mul_f64 v[94:95], v[66:67], s[12:13]
	v_add_f64 v[96:97], v[40:41], v[56:57]
	v_add_f64 v[98:99], v[42:43], v[58:59]
	v_mul_f64 v[114:115], v[60:61], s[26:27]
	v_mul_f64 v[116:117], v[66:67], s[28:29]
	;; [unrolled: 1-line block ×4, first 2 shown]
	v_fma_f64 v[104:105], v[90:91], s[12:13], v[92:93]
	v_fma_f64 v[106:107], v[64:65], s[20:21], v[94:95]
	v_add_f64 v[42:43], v[96:97], v[44:45]
	v_add_f64 v[44:45], v[98:99], v[62:63]
	v_mul_f64 v[108:109], v[66:67], s[22:23]
	v_fma_f64 v[118:119], v[90:91], s[28:29], v[114:115]
	v_fma_f64 v[120:121], v[64:65], s[30:31], v[116:117]
	v_fma_f64 v[114:115], v[90:91], s[28:29], -v[114:115]
	v_add_f64 v[98:99], v[52:53], v[104:105]
	v_add_f64 v[104:105], v[54:55], v[106:107]
	v_mul_f64 v[106:107], v[60:61], s[18:19]
	v_fma_f64 v[116:117], v[64:65], s[26:27], v[116:117]
	v_mul_f64 v[60:61], v[60:61], s[34:35]
	v_mul_f64 v[66:67], v[66:67], s[36:37]
	v_add_f64 v[122:123], v[70:71], -v[58:59]
	v_add_f64 v[58:59], v[70:71], v[58:59]
	v_add_f64 v[70:71], v[52:53], v[114:115]
	v_add_f64 v[56:57], v[68:69], -v[56:57]
	v_fma_f64 v[62:63], v[90:91], s[12:13], -v[92:93]
	v_add_f64 v[114:115], v[54:55], v[116:117]
	v_fma_f64 v[116:117], v[90:91], s[36:37], v[60:61]
	v_fma_f64 v[124:125], v[64:65], s[38:39], v[66:67]
	;; [unrolled: 1-line block ×3, first 2 shown]
	v_mul_f64 v[128:129], v[58:59], s[4:5]
	v_fma_f64 v[94:95], v[90:91], s[4:5], v[100:101]
	v_fma_f64 v[96:97], v[64:65], s[16:17], v[102:103]
	v_fma_f64 v[100:101], v[90:91], s[4:5], -v[100:101]
	v_fma_f64 v[102:103], v[64:65], s[2:3], v[102:103]
	v_fma_f64 v[110:111], v[90:91], s[22:23], v[106:107]
	;; [unrolled: 1-line block ×3, first 2 shown]
	v_fma_f64 v[106:107], v[90:91], s[22:23], -v[106:107]
	v_fma_f64 v[108:109], v[64:65], s[18:19], v[108:109]
	v_mul_f64 v[68:69], v[122:123], s[2:3]
	v_fma_f64 v[60:61], v[90:91], s[36:37], -v[60:61]
	v_fma_f64 v[64:65], v[64:65], s[34:35], v[66:67]
	v_add_f64 v[66:67], v[52:53], v[116:117]
	v_add_f64 v[90:91], v[54:55], v[124:125]
	v_mul_f64 v[116:117], v[122:123], s[26:27]
	v_mul_f64 v[124:125], v[58:59], s[28:29]
	v_fma_f64 v[132:133], v[56:57], s[16:17], v[128:129]
	v_add_f64 v[62:63], v[52:53], v[62:63]
	v_add_f64 v[92:93], v[54:55], v[92:93]
	;; [unrolled: 1-line block ×12, first 2 shown]
	v_fma_f64 v[130:131], v[126:127], s[4:5], v[68:69]
	v_add_f64 v[52:53], v[52:53], v[60:61]
	v_add_f64 v[54:55], v[54:55], v[64:65]
	v_fma_f64 v[60:61], v[126:127], s[4:5], -v[68:69]
	v_fma_f64 v[64:65], v[56:57], s[2:3], v[128:129]
	v_fma_f64 v[68:69], v[126:127], s[28:29], v[116:117]
	;; [unrolled: 1-line block ×3, first 2 shown]
	v_add_f64 v[104:105], v[132:133], v[104:105]
	v_mul_f64 v[132:133], v[58:59], s[36:37]
	v_add_f64 v[98:99], v[130:131], v[98:99]
	v_mul_f64 v[130:131], v[122:123], s[38:39]
	v_add_f64 v[60:61], v[60:61], v[62:63]
	v_add_f64 v[62:63], v[64:65], v[92:93]
	;; [unrolled: 1-line block ×4, first 2 shown]
	v_fma_f64 v[92:93], v[126:127], s[28:29], -v[116:117]
	v_fma_f64 v[94:95], v[56:57], s[26:27], v[124:125]
	v_fma_f64 v[116:117], v[56:57], s[34:35], v[132:133]
	v_mul_f64 v[124:125], v[122:123], s[24:25]
	v_mul_f64 v[128:129], v[58:59], s[22:23]
	v_fma_f64 v[96:97], v[126:127], s[36:37], v[130:131]
	v_mul_f64 v[122:123], v[122:123], s[20:21]
	v_mul_f64 v[58:59], v[58:59], s[12:13]
	v_add_f64 v[92:93], v[92:93], v[100:101]
	v_add_f64 v[94:95], v[94:95], v[102:103]
	v_add_f64 v[100:101], v[116:117], v[112:113]
	v_fma_f64 v[102:103], v[126:127], s[22:23], v[124:125]
	v_fma_f64 v[112:113], v[126:127], s[22:23], -v[124:125]
	v_fma_f64 v[116:117], v[56:57], s[24:25], v[128:129]
	v_add_f64 v[96:97], v[96:97], v[110:111]
	v_fma_f64 v[110:111], v[56:57], s[18:19], v[128:129]
	v_fma_f64 v[132:133], v[56:57], s[38:39], v[132:133]
	v_fma_f64 v[130:131], v[126:127], s[36:37], -v[130:131]
	v_mad_u64_u32 v[40:41], s[40:41], s10, v176, 0
	v_add_f64 v[102:103], v[102:103], v[118:119]
	v_add_f64 v[118:119], v[76:77], -v[46:47]
	v_add_f64 v[46:47], v[76:77], v[46:47]
	v_add_f64 v[70:71], v[112:113], v[70:71]
	;; [unrolled: 1-line block ×3, first 2 shown]
	v_fma_f64 v[112:113], v[126:127], s[12:13], v[122:123]
	v_fma_f64 v[114:115], v[56:57], s[14:15], v[58:59]
	v_add_f64 v[110:111], v[110:111], v[120:121]
	v_add_f64 v[116:117], v[74:75], v[88:89]
	v_add_f64 v[74:75], v[74:75], -v[88:89]
	v_mul_f64 v[88:89], v[118:119], s[18:19]
	v_mul_f64 v[120:121], v[46:47], s[22:23]
	v_fma_f64 v[56:57], v[56:57], s[20:21], v[58:59]
	v_add_f64 v[58:59], v[112:113], v[66:67]
	v_add_f64 v[66:67], v[114:115], v[90:91]
	v_mul_f64 v[90:91], v[118:119], s[38:39]
	v_fma_f64 v[122:123], v[126:127], s[12:13], -v[122:123]
	v_mul_f64 v[112:113], v[46:47], s[36:37]
	v_fma_f64 v[114:115], v[116:117], s[22:23], v[88:89]
	v_fma_f64 v[124:125], v[74:75], s[24:25], v[120:121]
	v_add_f64 v[54:55], v[56:57], v[54:55]
	v_fma_f64 v[56:57], v[116:117], s[22:23], -v[88:89]
	v_fma_f64 v[88:89], v[74:75], s[18:19], v[120:121]
	v_fma_f64 v[120:121], v[116:117], s[36:37], v[90:91]
	v_add_f64 v[52:53], v[122:123], v[52:53]
	v_fma_f64 v[122:123], v[74:75], s[34:35], v[112:113]
	v_add_f64 v[98:99], v[114:115], v[98:99]
	v_add_f64 v[104:105], v[124:125], v[104:105]
	v_mul_f64 v[114:115], v[118:119], s[16:17]
	v_mul_f64 v[124:125], v[46:47], s[4:5]
	v_add_f64 v[56:57], v[56:57], v[60:61]
	v_add_f64 v[60:61], v[88:89], v[62:63]
	;; [unrolled: 1-line block ×3, first 2 shown]
	v_fma_f64 v[88:89], v[74:75], s[38:39], v[112:113]
	v_mul_f64 v[120:121], v[118:119], s[14:15]
	v_add_f64 v[64:65], v[122:123], v[68:69]
	v_fma_f64 v[68:69], v[116:117], s[36:37], -v[90:91]
	v_fma_f64 v[90:91], v[116:117], s[4:5], v[114:115]
	v_fma_f64 v[112:113], v[74:75], s[2:3], v[124:125]
	v_mul_f64 v[122:123], v[46:47], s[12:13]
	v_add_f64 v[106:107], v[130:131], v[106:107]
	v_add_f64 v[88:89], v[88:89], v[94:95]
	v_fma_f64 v[94:95], v[116:117], s[12:13], v[120:121]
	v_add_f64 v[108:109], v[132:133], v[108:109]
	v_fma_f64 v[114:115], v[116:117], s[4:5], -v[114:115]
	v_fma_f64 v[124:125], v[74:75], s[16:17], v[124:125]
	v_add_f64 v[68:69], v[68:69], v[92:93]
	v_add_f64 v[90:91], v[90:91], v[96:97]
	;; [unrolled: 1-line block ×3, first 2 shown]
	v_fma_f64 v[96:97], v[74:75], s[20:21], v[122:123]
	v_mul_f64 v[46:47], v[46:47], s[28:29]
	v_fma_f64 v[112:113], v[116:117], s[12:13], -v[120:121]
	v_add_f64 v[94:95], v[94:95], v[102:103]
	v_add_f64 v[102:103], v[78:79], -v[50:51]
	v_add_f64 v[100:101], v[114:115], v[106:107]
	v_add_f64 v[106:107], v[124:125], v[108:109]
	v_mul_f64 v[108:109], v[118:119], s[26:27]
	v_fma_f64 v[114:115], v[74:75], s[14:15], v[122:123]
	v_add_f64 v[96:97], v[96:97], v[110:111]
	v_add_f64 v[50:51], v[78:79], v[50:51]
	v_fma_f64 v[110:111], v[74:75], s[30:31], v[46:47]
	v_add_f64 v[70:71], v[112:113], v[70:71]
	v_add_f64 v[112:113], v[72:73], v[48:49]
	v_add_f64 v[48:49], v[72:73], -v[48:49]
	v_mul_f64 v[72:73], v[102:103], s[26:27]
	v_fma_f64 v[78:79], v[116:117], s[28:29], v[108:109]
	v_add_f64 v[76:77], v[114:115], v[76:77]
	v_mul_f64 v[114:115], v[50:51], s[28:29]
	v_add_f64 v[66:67], v[110:111], v[66:67]
	v_fma_f64 v[46:47], v[74:75], s[26:27], v[46:47]
	v_mul_f64 v[74:75], v[102:103], s[24:25]
	v_fma_f64 v[110:111], v[112:113], s[28:29], v[72:73]
	v_fma_f64 v[72:73], v[112:113], s[28:29], -v[72:73]
	v_add_f64 v[58:59], v[78:79], v[58:59]
	v_fma_f64 v[78:79], v[116:117], s[28:29], -v[108:109]
	v_mul_f64 v[108:109], v[50:51], s[22:23]
	v_fma_f64 v[116:117], v[48:49], s[30:31], v[114:115]
	v_fma_f64 v[114:115], v[48:49], s[26:27], v[114:115]
	v_add_f64 v[46:47], v[46:47], v[54:55]
	v_fma_f64 v[54:55], v[112:113], s[22:23], v[74:75]
	v_add_f64 v[56:57], v[72:73], v[56:57]
	v_mul_f64 v[72:73], v[102:103], s[14:15]
	v_add_f64 v[52:53], v[78:79], v[52:53]
	v_fma_f64 v[78:79], v[48:49], s[18:19], v[108:109]
	v_add_f64 v[98:99], v[110:111], v[98:99]
	v_add_f64 v[60:61], v[114:115], v[60:61]
	v_mul_f64 v[110:111], v[50:51], s[12:13]
	v_add_f64 v[104:105], v[116:117], v[104:105]
	v_add_f64 v[54:55], v[54:55], v[62:63]
	v_fma_f64 v[114:115], v[112:113], s[12:13], v[72:73]
	v_fma_f64 v[72:73], v[112:113], s[12:13], -v[72:73]
	v_add_f64 v[62:63], v[78:79], v[64:65]
	v_mul_f64 v[64:65], v[102:103], s[34:35]
	v_mul_f64 v[78:79], v[50:51], s[36:37]
	v_fma_f64 v[74:75], v[112:113], s[22:23], -v[74:75]
	v_fma_f64 v[108:109], v[48:49], s[24:25], v[108:109]
	v_fma_f64 v[116:117], v[48:49], s[20:21], v[110:111]
	;; [unrolled: 1-line block ×3, first 2 shown]
	v_add_f64 v[72:73], v[72:73], v[100:101]
	v_add_f64 v[100:101], v[82:83], -v[86:87]
	v_add_f64 v[82:83], v[82:83], v[86:87]
	v_mul_f64 v[50:51], v[50:51], s[4:5]
	v_mul_f64 v[86:87], v[102:103], s[16:17]
	v_fma_f64 v[118:119], v[112:113], s[36:37], v[64:65]
	v_add_f64 v[68:69], v[74:75], v[68:69]
	v_add_f64 v[74:75], v[108:109], v[88:89]
	;; [unrolled: 1-line block ×5, first 2 shown]
	v_fma_f64 v[64:65], v[112:113], s[36:37], -v[64:65]
	v_add_f64 v[102:103], v[80:81], v[84:85]
	v_add_f64 v[80:81], v[80:81], -v[84:85]
	v_mul_f64 v[84:85], v[100:101], s[34:35]
	v_mul_f64 v[106:107], v[82:83], s[36:37]
	v_fma_f64 v[110:111], v[48:49], s[2:3], v[50:51]
	v_fma_f64 v[120:121], v[48:49], s[38:39], v[78:79]
	;; [unrolled: 1-line block ×4, first 2 shown]
	v_add_f64 v[114:115], v[64:65], v[70:71]
	v_fma_f64 v[64:65], v[112:113], s[4:5], -v[86:87]
	v_fma_f64 v[48:49], v[48:49], s[16:17], v[50:51]
	v_fma_f64 v[50:51], v[102:103], s[36:37], v[84:85]
	;; [unrolled: 1-line block ×3, first 2 shown]
	v_add_f64 v[86:87], v[110:111], v[66:67]
	v_mul_f64 v[66:67], v[82:83], s[12:13]
	v_add_f64 v[76:77], v[78:79], v[76:77]
	v_add_f64 v[78:79], v[108:109], v[58:59]
	v_mul_f64 v[58:59], v[100:101], s[20:21]
	v_add_f64 v[108:109], v[64:65], v[52:53]
	v_add_f64 v[110:111], v[48:49], v[46:47]
	;; [unrolled: 1-line block ×4, first 2 shown]
	v_fma_f64 v[50:51], v[102:103], s[36:37], -v[84:85]
	v_fma_f64 v[52:53], v[80:81], s[34:35], v[106:107]
	v_fma_f64 v[70:71], v[80:81], s[14:15], v[66:67]
	v_mul_f64 v[84:85], v[100:101], s[26:27]
	v_fma_f64 v[66:67], v[80:81], s[20:21], v[66:67]
	v_fma_f64 v[64:65], v[102:103], s[12:13], v[58:59]
	v_fma_f64 v[58:59], v[102:103], s[12:13], -v[58:59]
	v_mul_f64 v[98:99], v[82:83], s[28:29]
	v_add_f64 v[50:51], v[50:51], v[56:57]
	v_add_f64 v[52:53], v[52:53], v[60:61]
	;; [unrolled: 1-line block ×3, first 2 shown]
	v_fma_f64 v[62:63], v[102:103], s[28:29], v[84:85]
	v_add_f64 v[60:61], v[66:67], v[74:75]
	v_fma_f64 v[66:67], v[102:103], s[28:29], -v[84:85]
	v_mul_f64 v[70:71], v[100:101], s[16:17]
	v_mul_f64 v[74:75], v[82:83], s[4:5]
	v_add_f64 v[58:59], v[58:59], v[68:69]
	v_fma_f64 v[68:69], v[80:81], s[26:27], v[98:99]
	v_mul_f64 v[84:85], v[100:101], s[18:19]
	v_mul_f64 v[82:83], v[82:83], s[22:23]
	v_add_f64 v[54:55], v[64:65], v[54:55]
	v_fma_f64 v[64:65], v[80:81], s[30:31], v[98:99]
	v_add_f64 v[94:95], v[118:119], v[94:95]
	v_add_f64 v[96:97], v[120:121], v[96:97]
	v_add_f64 v[62:63], v[62:63], v[88:89]
	v_add_f64 v[66:67], v[66:67], v[72:73]
	v_fma_f64 v[72:73], v[102:103], s[4:5], v[70:71]
	v_fma_f64 v[88:89], v[80:81], s[2:3], v[74:75]
	v_add_f64 v[68:69], v[68:69], v[92:93]
	v_fma_f64 v[92:93], v[102:103], s[22:23], v[84:85]
	v_fma_f64 v[98:99], v[80:81], s[24:25], v[82:83]
	v_fma_f64 v[84:85], v[102:103], s[22:23], -v[84:85]
	v_fma_f64 v[100:101], v[80:81], s[18:19], v[82:83]
	v_add_f64 v[64:65], v[64:65], v[90:91]
	v_fma_f64 v[90:91], v[102:103], s[4:5], -v[70:71]
	v_fma_f64 v[102:103], v[80:81], s[16:17], v[74:75]
	v_add_f64 v[70:71], v[72:73], v[94:95]
	v_add_f64 v[72:73], v[88:89], v[96:97]
	;; [unrolled: 1-line block ×8, first 2 shown]
	ds_write_b128 v182, v[42:45]
	ds_write_b128 v182, v[46:49] offset:1408
	ds_write_b128 v182, v[54:57] offset:2816
	;; [unrolled: 1-line block ×10, first 2 shown]
	s_waitcnt lgkmcnt(0)
	s_barrier
	ds_read_b128 v[42:45], v182
	ds_read_b128 v[46:49], v182 offset:1408
	v_mad_u64_u32 v[54:55], s[2:3], s8, v181, 0
	v_mov_b32_e32 v58, s7
	s_waitcnt lgkmcnt(1)
	v_mul_f64 v[50:51], v[38:39], v[44:45]
	v_mul_f64 v[38:39], v[38:39], v[42:43]
	v_mad_u64_u32 v[52:53], s[2:3], s11, v176, v[41:42]
	s_mov_b32 s2, 0x6be69c90
	s_mov_b32 s3, 0x3f50ecf5
	v_mov_b32_e32 v41, v52
	v_lshlrev_b64 v[40:41], 4, v[40:41]
	v_fma_f64 v[42:43], v[36:37], v[42:43], v[50:51]
	v_fma_f64 v[44:45], v[36:37], v[44:45], -v[38:39]
	v_mov_b32_e32 v36, v55
	v_mad_u64_u32 v[50:51], s[4:5], s9, v181, v[36:37]
	ds_read_b128 v[36:39], v182 offset:7744
	v_add_co_u32_e32 v59, vcc, s6, v40
	v_mov_b32_e32 v55, v50
	ds_read_b128 v[50:53], v182 offset:5632
	s_waitcnt lgkmcnt(1)
	v_mul_f64 v[56:57], v[2:3], v[38:39]
	v_mul_f64 v[2:3], v[2:3], v[36:37]
	;; [unrolled: 1-line block ×4, first 2 shown]
	v_addc_co_u32_e32 v58, vcc, v58, v41, vcc
	v_lshlrev_b64 v[40:41], 4, v[54:55]
	s_mul_i32 s4, s9, 0x1e4
	v_fma_f64 v[36:37], v[0:1], v[36:37], v[56:57]
	v_fma_f64 v[2:3], v[0:1], v[38:39], -v[2:3]
	v_add_co_u32_e32 v38, vcc, v59, v40
	v_addc_co_u32_e32 v39, vcc, v58, v41, vcc
	s_mul_hi_u32 s5, s8, 0x1e4
	s_add_i32 s5, s5, s4
	v_mul_f64 v[0:1], v[36:37], s[2:3]
	v_mul_f64 v[36:37], v[6:7], v[48:49]
	;; [unrolled: 1-line block ×4, first 2 shown]
	s_mul_i32 s4, s8, 0x1e4
	s_lshl_b64 s[4:5], s[4:5], 4
	global_store_dwordx4 v[38:39], v[42:45], off
	v_mov_b32_e32 v54, s5
	v_add_co_u32_e32 v44, vcc, s4, v38
	v_fma_f64 v[36:37], v[4:5], v[46:47], v[36:37]
	v_fma_f64 v[40:41], v[4:5], v[48:49], -v[6:7]
	ds_read_b128 v[4:7], v182 offset:9152
	v_addc_co_u32_e32 v45, vcc, v39, v54, vcc
	global_store_dwordx4 v[44:45], v[0:3], off
	s_mul_hi_u32 s7, s8, 0xfffffe74
	s_mul_i32 s6, s9, 0xfffffe74
	v_mul_f64 v[0:1], v[36:37], s[2:3]
	ds_read_b128 v[36:39], v182 offset:10560
	s_waitcnt lgkmcnt(1)
	v_mul_f64 v[46:47], v[22:23], v[6:7]
	v_mul_f64 v[22:23], v[22:23], v[4:5]
	;; [unrolled: 1-line block ×3, first 2 shown]
	ds_read_b128 v[40:43], v182 offset:2816
	s_sub_i32 s7, s7, s8
	s_add_i32 s7, s7, s6
	s_mul_i32 s6, s8, 0xfffffe74
	s_lshl_b64 s[6:7], s[6:7], 4
	v_fma_f64 v[46:47], v[20:21], v[4:5], v[46:47]
	v_fma_f64 v[20:21], v[20:21], v[6:7], -v[22:23]
	ds_read_b128 v[4:7], v182 offset:4224
	s_waitcnt lgkmcnt(1)
	v_mul_f64 v[22:23], v[10:11], v[42:43]
	v_mul_f64 v[10:11], v[10:11], v[40:41]
	v_mov_b32_e32 v48, s7
	v_add_co_u32_e32 v44, vcc, s6, v44
	v_addc_co_u32_e32 v45, vcc, v45, v48, vcc
	global_store_dwordx4 v[44:45], v[0:3], off
	s_nop 0
	v_mul_f64 v[0:1], v[46:47], s[2:3]
	v_mul_f64 v[2:3], v[20:21], s[2:3]
	v_fma_f64 v[20:21], v[8:9], v[40:41], v[22:23]
	v_fma_f64 v[8:9], v[8:9], v[42:43], -v[10:11]
	v_mul_f64 v[10:11], v[14:15], v[38:39]
	v_mul_f64 v[14:15], v[14:15], v[36:37]
	v_add_co_u32_e32 v22, vcc, s4, v44
	v_addc_co_u32_e32 v23, vcc, v45, v54, vcc
	global_store_dwordx4 v[22:23], v[0:3], off
	v_add_co_u32_e32 v22, vcc, s6, v22
	v_mul_f64 v[0:1], v[20:21], s[2:3]
	v_mul_f64 v[2:3], v[8:9], s[2:3]
	v_fma_f64 v[8:9], v[12:13], v[36:37], v[10:11]
	v_fma_f64 v[12:13], v[12:13], v[38:39], -v[14:15]
	s_waitcnt lgkmcnt(0)
	v_mul_f64 v[14:15], v[34:35], v[6:7]
	v_mul_f64 v[20:21], v[34:35], v[4:5]
	v_addc_co_u32_e32 v23, vcc, v23, v48, vcc
	global_store_dwordx4 v[22:23], v[0:3], off
	s_nop 0
	v_mul_f64 v[0:1], v[8:9], s[2:3]
	ds_read_b128 v[8:11], v182 offset:11968
	v_mul_f64 v[2:3], v[12:13], s[2:3]
	v_fma_f64 v[12:13], v[32:33], v[4:5], v[14:15]
	v_fma_f64 v[14:15], v[32:33], v[6:7], -v[20:21]
	ds_read_b128 v[4:7], v182 offset:13376
	s_waitcnt lgkmcnt(1)
	v_mul_f64 v[20:21], v[18:19], v[10:11]
	v_mul_f64 v[18:19], v[18:19], v[8:9]
	v_add_co_u32_e32 v22, vcc, s4, v22
	v_addc_co_u32_e32 v23, vcc, v23, v54, vcc
	global_store_dwordx4 v[22:23], v[0:3], off
	v_fma_f64 v[8:9], v[16:17], v[8:9], v[20:21]
	v_mul_f64 v[0:1], v[12:13], s[2:3]
	v_mul_f64 v[2:3], v[14:15], s[2:3]
	v_fma_f64 v[10:11], v[16:17], v[10:11], -v[18:19]
	v_mul_f64 v[12:13], v[26:27], v[52:53]
	v_mul_f64 v[14:15], v[26:27], v[50:51]
	s_waitcnt lgkmcnt(0)
	v_mul_f64 v[16:17], v[30:31], v[6:7]
	v_mul_f64 v[18:19], v[30:31], v[4:5]
	v_add_co_u32_e32 v20, vcc, s6, v22
	v_addc_co_u32_e32 v21, vcc, v23, v48, vcc
	global_store_dwordx4 v[20:21], v[0:3], off
	s_nop 0
	v_mul_f64 v[0:1], v[8:9], s[2:3]
	v_mul_f64 v[2:3], v[10:11], s[2:3]
	v_fma_f64 v[8:9], v[24:25], v[50:51], v[12:13]
	v_fma_f64 v[10:11], v[24:25], v[52:53], -v[14:15]
	v_fma_f64 v[12:13], v[28:29], v[4:5], v[16:17]
	v_fma_f64 v[14:15], v[28:29], v[6:7], -v[18:19]
	v_add_co_u32_e32 v16, vcc, s4, v20
	v_addc_co_u32_e32 v17, vcc, v21, v54, vcc
	v_mul_f64 v[4:5], v[8:9], s[2:3]
	v_mul_f64 v[6:7], v[10:11], s[2:3]
	;; [unrolled: 1-line block ×4, first 2 shown]
	global_store_dwordx4 v[16:17], v[0:3], off
	s_nop 0
	v_add_co_u32_e32 v0, vcc, s6, v16
	v_addc_co_u32_e32 v1, vcc, v17, v48, vcc
	global_store_dwordx4 v[0:1], v[4:7], off
	v_add_co_u32_e32 v0, vcc, s4, v0
	v_addc_co_u32_e32 v1, vcc, v1, v54, vcc
	global_store_dwordx4 v[0:1], v[8:11], off
	s_and_b64 exec, exec, s[0:1]
	s_cbranch_execz .LBB0_31
; %bb.30:
	v_add_co_u32_e32 v2, vcc, 0x1000, v179
	v_addc_co_u32_e32 v3, vcc, 0, v180, vcc
	s_movk_i32 s0, 0x3000
	v_add_co_u32_e32 v6, vcc, s0, v179
	global_load_dwordx4 v[2:5], v[2:3], off offset:2944
	v_addc_co_u32_e32 v7, vcc, 0, v180, vcc
	global_load_dwordx4 v[6:9], v[6:7], off offset:2496
	ds_read_b128 v[10:13], v182 offset:7040
	ds_read_b128 v[14:17], v182 offset:14784
	v_add_co_u32_e32 v0, vcc, s6, v0
	s_waitcnt vmcnt(1) lgkmcnt(1)
	v_mul_f64 v[18:19], v[12:13], v[4:5]
	v_mul_f64 v[4:5], v[10:11], v[4:5]
	s_waitcnt vmcnt(0) lgkmcnt(0)
	v_mul_f64 v[20:21], v[16:17], v[8:9]
	v_mul_f64 v[8:9], v[14:15], v[8:9]
	v_fma_f64 v[10:11], v[10:11], v[2:3], v[18:19]
	v_fma_f64 v[4:5], v[2:3], v[12:13], -v[4:5]
	v_fma_f64 v[12:13], v[14:15], v[6:7], v[20:21]
	v_fma_f64 v[8:9], v[6:7], v[16:17], -v[8:9]
	v_mov_b32_e32 v14, s7
	v_addc_co_u32_e32 v1, vcc, v1, v14, vcc
	v_mul_f64 v[2:3], v[10:11], s[2:3]
	v_mul_f64 v[4:5], v[4:5], s[2:3]
	v_mov_b32_e32 v15, s5
	v_mul_f64 v[6:7], v[12:13], s[2:3]
	v_mul_f64 v[8:9], v[8:9], s[2:3]
	v_add_co_u32_e32 v10, vcc, s4, v0
	v_addc_co_u32_e32 v11, vcc, v1, v15, vcc
	global_store_dwordx4 v[0:1], v[2:5], off
	global_store_dwordx4 v[10:11], v[6:9], off
.LBB0_31:
	s_endpgm
	.section	.rodata,"a",@progbits
	.p2align	6, 0x0
	.amdhsa_kernel bluestein_single_fwd_len968_dim1_dp_op_CI_CI
		.amdhsa_group_segment_fixed_size 30976
		.amdhsa_private_segment_fixed_size 0
		.amdhsa_kernarg_size 104
		.amdhsa_user_sgpr_count 6
		.amdhsa_user_sgpr_private_segment_buffer 1
		.amdhsa_user_sgpr_dispatch_ptr 0
		.amdhsa_user_sgpr_queue_ptr 0
		.amdhsa_user_sgpr_kernarg_segment_ptr 1
		.amdhsa_user_sgpr_dispatch_id 0
		.amdhsa_user_sgpr_flat_scratch_init 0
		.amdhsa_user_sgpr_private_segment_size 0
		.amdhsa_uses_dynamic_stack 0
		.amdhsa_system_sgpr_private_segment_wavefront_offset 0
		.amdhsa_system_sgpr_workgroup_id_x 1
		.amdhsa_system_sgpr_workgroup_id_y 0
		.amdhsa_system_sgpr_workgroup_id_z 0
		.amdhsa_system_sgpr_workgroup_info 0
		.amdhsa_system_vgpr_workitem_id 0
		.amdhsa_next_free_vgpr 254
		.amdhsa_next_free_sgpr 44
		.amdhsa_reserve_vcc 1
		.amdhsa_reserve_flat_scratch 0
		.amdhsa_float_round_mode_32 0
		.amdhsa_float_round_mode_16_64 0
		.amdhsa_float_denorm_mode_32 3
		.amdhsa_float_denorm_mode_16_64 3
		.amdhsa_dx10_clamp 1
		.amdhsa_ieee_mode 1
		.amdhsa_fp16_overflow 0
		.amdhsa_exception_fp_ieee_invalid_op 0
		.amdhsa_exception_fp_denorm_src 0
		.amdhsa_exception_fp_ieee_div_zero 0
		.amdhsa_exception_fp_ieee_overflow 0
		.amdhsa_exception_fp_ieee_underflow 0
		.amdhsa_exception_fp_ieee_inexact 0
		.amdhsa_exception_int_div_zero 0
	.end_amdhsa_kernel
	.text
.Lfunc_end0:
	.size	bluestein_single_fwd_len968_dim1_dp_op_CI_CI, .Lfunc_end0-bluestein_single_fwd_len968_dim1_dp_op_CI_CI
                                        ; -- End function
	.section	.AMDGPU.csdata,"",@progbits
; Kernel info:
; codeLenInByte = 19016
; NumSgprs: 48
; NumVgprs: 254
; ScratchSize: 0
; MemoryBound: 0
; FloatMode: 240
; IeeeMode: 1
; LDSByteSize: 30976 bytes/workgroup (compile time only)
; SGPRBlocks: 5
; VGPRBlocks: 63
; NumSGPRsForWavesPerEU: 48
; NumVGPRsForWavesPerEU: 254
; Occupancy: 1
; WaveLimiterHint : 1
; COMPUTE_PGM_RSRC2:SCRATCH_EN: 0
; COMPUTE_PGM_RSRC2:USER_SGPR: 6
; COMPUTE_PGM_RSRC2:TRAP_HANDLER: 0
; COMPUTE_PGM_RSRC2:TGID_X_EN: 1
; COMPUTE_PGM_RSRC2:TGID_Y_EN: 0
; COMPUTE_PGM_RSRC2:TGID_Z_EN: 0
; COMPUTE_PGM_RSRC2:TIDIG_COMP_CNT: 0
	.type	__hip_cuid_3cc6d7096cbda0ab,@object ; @__hip_cuid_3cc6d7096cbda0ab
	.section	.bss,"aw",@nobits
	.globl	__hip_cuid_3cc6d7096cbda0ab
__hip_cuid_3cc6d7096cbda0ab:
	.byte	0                               ; 0x0
	.size	__hip_cuid_3cc6d7096cbda0ab, 1

	.ident	"AMD clang version 19.0.0git (https://github.com/RadeonOpenCompute/llvm-project roc-6.4.0 25133 c7fe45cf4b819c5991fe208aaa96edf142730f1d)"
	.section	".note.GNU-stack","",@progbits
	.addrsig
	.addrsig_sym __hip_cuid_3cc6d7096cbda0ab
	.amdgpu_metadata
---
amdhsa.kernels:
  - .args:
      - .actual_access:  read_only
        .address_space:  global
        .offset:         0
        .size:           8
        .value_kind:     global_buffer
      - .actual_access:  read_only
        .address_space:  global
        .offset:         8
        .size:           8
        .value_kind:     global_buffer
      - .actual_access:  read_only
        .address_space:  global
        .offset:         16
        .size:           8
        .value_kind:     global_buffer
      - .actual_access:  read_only
        .address_space:  global
        .offset:         24
        .size:           8
        .value_kind:     global_buffer
      - .actual_access:  read_only
        .address_space:  global
        .offset:         32
        .size:           8
        .value_kind:     global_buffer
      - .offset:         40
        .size:           8
        .value_kind:     by_value
      - .address_space:  global
        .offset:         48
        .size:           8
        .value_kind:     global_buffer
      - .address_space:  global
        .offset:         56
        .size:           8
        .value_kind:     global_buffer
      - .address_space:  global
        .offset:         64
        .size:           8
        .value_kind:     global_buffer
      - .address_space:  global
        .offset:         72
        .size:           8
        .value_kind:     global_buffer
      - .offset:         80
        .size:           4
        .value_kind:     by_value
      - .address_space:  global
        .offset:         88
        .size:           8
        .value_kind:     global_buffer
      - .address_space:  global
        .offset:         96
        .size:           8
        .value_kind:     global_buffer
    .group_segment_fixed_size: 30976
    .kernarg_segment_align: 8
    .kernarg_segment_size: 104
    .language:       OpenCL C
    .language_version:
      - 2
      - 0
    .max_flat_workgroup_size: 176
    .name:           bluestein_single_fwd_len968_dim1_dp_op_CI_CI
    .private_segment_fixed_size: 0
    .sgpr_count:     48
    .sgpr_spill_count: 0
    .symbol:         bluestein_single_fwd_len968_dim1_dp_op_CI_CI.kd
    .uniform_work_group_size: 1
    .uses_dynamic_stack: false
    .vgpr_count:     254
    .vgpr_spill_count: 0
    .wavefront_size: 64
amdhsa.target:   amdgcn-amd-amdhsa--gfx906
amdhsa.version:
  - 1
  - 2
...

	.end_amdgpu_metadata
